;; amdgpu-corpus repo=ROCm/rocFFT kind=compiled arch=gfx906 opt=O3
	.text
	.amdgcn_target "amdgcn-amd-amdhsa--gfx906"
	.amdhsa_code_object_version 6
	.protected	fft_rtc_back_len450_factors_10_5_3_3_wgs_120_tpt_30_halfLds_dp_ip_CI_unitstride_sbrr_R2C_dirReg ; -- Begin function fft_rtc_back_len450_factors_10_5_3_3_wgs_120_tpt_30_halfLds_dp_ip_CI_unitstride_sbrr_R2C_dirReg
	.globl	fft_rtc_back_len450_factors_10_5_3_3_wgs_120_tpt_30_halfLds_dp_ip_CI_unitstride_sbrr_R2C_dirReg
	.p2align	8
	.type	fft_rtc_back_len450_factors_10_5_3_3_wgs_120_tpt_30_halfLds_dp_ip_CI_unitstride_sbrr_R2C_dirReg,@function
fft_rtc_back_len450_factors_10_5_3_3_wgs_120_tpt_30_halfLds_dp_ip_CI_unitstride_sbrr_R2C_dirReg: ; @fft_rtc_back_len450_factors_10_5_3_3_wgs_120_tpt_30_halfLds_dp_ip_CI_unitstride_sbrr_R2C_dirReg
; %bb.0:
	s_load_dwordx2 s[12:13], s[4:5], 0x50
	s_load_dwordx4 s[8:11], s[4:5], 0x0
	s_load_dwordx2 s[2:3], s[4:5], 0x18
	v_mul_u32_u24_e32 v1, 0x889, v0
	v_lshrrev_b32_e32 v9, 16, v1
	v_mov_b32_e32 v3, 0
	s_waitcnt lgkmcnt(0)
	v_cmp_lt_u64_e64 s[0:1], s[10:11], 2
	v_mov_b32_e32 v1, 0
	v_lshl_add_u32 v5, s6, 2, v9
	v_mov_b32_e32 v6, v3
	s_and_b64 vcc, exec, s[0:1]
	v_mov_b32_e32 v2, 0
	s_cbranch_vccnz .LBB0_8
; %bb.1:
	s_load_dwordx2 s[0:1], s[4:5], 0x10
	s_add_u32 s6, s2, 8
	s_addc_u32 s7, s3, 0
	v_mov_b32_e32 v1, 0
	v_mov_b32_e32 v2, 0
	s_waitcnt lgkmcnt(0)
	s_add_u32 s14, s0, 8
	s_addc_u32 s15, s1, 0
	s_mov_b64 s[16:17], 1
.LBB0_2:                                ; =>This Inner Loop Header: Depth=1
	s_load_dwordx2 s[18:19], s[14:15], 0x0
                                        ; implicit-def: $vgpr7_vgpr8
	s_waitcnt lgkmcnt(0)
	v_or_b32_e32 v4, s19, v6
	v_cmp_ne_u64_e32 vcc, 0, v[3:4]
	s_and_saveexec_b64 s[0:1], vcc
	s_xor_b64 s[20:21], exec, s[0:1]
	s_cbranch_execz .LBB0_4
; %bb.3:                                ;   in Loop: Header=BB0_2 Depth=1
	v_cvt_f32_u32_e32 v4, s18
	v_cvt_f32_u32_e32 v7, s19
	s_sub_u32 s0, 0, s18
	s_subb_u32 s1, 0, s19
	v_mac_f32_e32 v4, 0x4f800000, v7
	v_rcp_f32_e32 v4, v4
	v_mul_f32_e32 v4, 0x5f7ffffc, v4
	v_mul_f32_e32 v7, 0x2f800000, v4
	v_trunc_f32_e32 v7, v7
	v_mac_f32_e32 v4, 0xcf800000, v7
	v_cvt_u32_f32_e32 v7, v7
	v_cvt_u32_f32_e32 v4, v4
	v_mul_lo_u32 v8, s0, v7
	v_mul_hi_u32 v10, s0, v4
	v_mul_lo_u32 v12, s1, v4
	v_mul_lo_u32 v11, s0, v4
	v_add_u32_e32 v8, v10, v8
	v_add_u32_e32 v8, v8, v12
	v_mul_hi_u32 v10, v4, v11
	v_mul_lo_u32 v12, v4, v8
	v_mul_hi_u32 v14, v4, v8
	v_mul_hi_u32 v13, v7, v11
	v_mul_lo_u32 v11, v7, v11
	v_mul_hi_u32 v15, v7, v8
	v_add_co_u32_e32 v10, vcc, v10, v12
	v_addc_co_u32_e32 v12, vcc, 0, v14, vcc
	v_mul_lo_u32 v8, v7, v8
	v_add_co_u32_e32 v10, vcc, v10, v11
	v_addc_co_u32_e32 v10, vcc, v12, v13, vcc
	v_addc_co_u32_e32 v11, vcc, 0, v15, vcc
	v_add_co_u32_e32 v8, vcc, v10, v8
	v_addc_co_u32_e32 v10, vcc, 0, v11, vcc
	v_add_co_u32_e32 v4, vcc, v4, v8
	v_addc_co_u32_e32 v7, vcc, v7, v10, vcc
	v_mul_lo_u32 v8, s0, v7
	v_mul_hi_u32 v10, s0, v4
	v_mul_lo_u32 v11, s1, v4
	v_mul_lo_u32 v12, s0, v4
	v_add_u32_e32 v8, v10, v8
	v_add_u32_e32 v8, v8, v11
	v_mul_lo_u32 v13, v4, v8
	v_mul_hi_u32 v14, v4, v12
	v_mul_hi_u32 v15, v4, v8
	;; [unrolled: 1-line block ×3, first 2 shown]
	v_mul_lo_u32 v12, v7, v12
	v_mul_hi_u32 v10, v7, v8
	v_add_co_u32_e32 v13, vcc, v14, v13
	v_addc_co_u32_e32 v14, vcc, 0, v15, vcc
	v_mul_lo_u32 v8, v7, v8
	v_add_co_u32_e32 v12, vcc, v13, v12
	v_addc_co_u32_e32 v11, vcc, v14, v11, vcc
	v_addc_co_u32_e32 v10, vcc, 0, v10, vcc
	v_add_co_u32_e32 v8, vcc, v11, v8
	v_addc_co_u32_e32 v10, vcc, 0, v10, vcc
	v_add_co_u32_e32 v4, vcc, v4, v8
	v_addc_co_u32_e32 v10, vcc, v7, v10, vcc
	v_mad_u64_u32 v[7:8], s[0:1], v5, v10, 0
	v_mul_hi_u32 v11, v5, v4
	v_add_co_u32_e32 v12, vcc, v11, v7
	v_addc_co_u32_e32 v13, vcc, 0, v8, vcc
	v_mad_u64_u32 v[7:8], s[0:1], v6, v4, 0
	v_mad_u64_u32 v[10:11], s[0:1], v6, v10, 0
	v_add_co_u32_e32 v4, vcc, v12, v7
	v_addc_co_u32_e32 v4, vcc, v13, v8, vcc
	v_addc_co_u32_e32 v7, vcc, 0, v11, vcc
	v_add_co_u32_e32 v4, vcc, v4, v10
	v_addc_co_u32_e32 v10, vcc, 0, v7, vcc
	v_mul_lo_u32 v11, s19, v4
	v_mul_lo_u32 v12, s18, v10
	v_mad_u64_u32 v[7:8], s[0:1], s18, v4, 0
	v_add3_u32 v8, v8, v12, v11
	v_sub_u32_e32 v11, v6, v8
	v_mov_b32_e32 v12, s19
	v_sub_co_u32_e32 v7, vcc, v5, v7
	v_subb_co_u32_e64 v11, s[0:1], v11, v12, vcc
	v_subrev_co_u32_e64 v12, s[0:1], s18, v7
	v_subbrev_co_u32_e64 v11, s[0:1], 0, v11, s[0:1]
	v_cmp_le_u32_e64 s[0:1], s19, v11
	v_cndmask_b32_e64 v13, 0, -1, s[0:1]
	v_cmp_le_u32_e64 s[0:1], s18, v12
	v_cndmask_b32_e64 v12, 0, -1, s[0:1]
	v_cmp_eq_u32_e64 s[0:1], s19, v11
	v_cndmask_b32_e64 v11, v13, v12, s[0:1]
	v_add_co_u32_e64 v12, s[0:1], 2, v4
	v_addc_co_u32_e64 v13, s[0:1], 0, v10, s[0:1]
	v_add_co_u32_e64 v14, s[0:1], 1, v4
	v_addc_co_u32_e64 v15, s[0:1], 0, v10, s[0:1]
	v_subb_co_u32_e32 v8, vcc, v6, v8, vcc
	v_cmp_ne_u32_e64 s[0:1], 0, v11
	v_cmp_le_u32_e32 vcc, s19, v8
	v_cndmask_b32_e64 v11, v15, v13, s[0:1]
	v_cndmask_b32_e64 v13, 0, -1, vcc
	v_cmp_le_u32_e32 vcc, s18, v7
	v_cndmask_b32_e64 v7, 0, -1, vcc
	v_cmp_eq_u32_e32 vcc, s19, v8
	v_cndmask_b32_e32 v7, v13, v7, vcc
	v_cmp_ne_u32_e32 vcc, 0, v7
	v_cndmask_b32_e64 v7, v14, v12, s[0:1]
	v_cndmask_b32_e32 v8, v10, v11, vcc
	v_cndmask_b32_e32 v7, v4, v7, vcc
.LBB0_4:                                ;   in Loop: Header=BB0_2 Depth=1
	s_andn2_saveexec_b64 s[0:1], s[20:21]
	s_cbranch_execz .LBB0_6
; %bb.5:                                ;   in Loop: Header=BB0_2 Depth=1
	v_cvt_f32_u32_e32 v4, s18
	s_sub_i32 s20, 0, s18
	v_rcp_iflag_f32_e32 v4, v4
	v_mul_f32_e32 v4, 0x4f7ffffe, v4
	v_cvt_u32_f32_e32 v4, v4
	v_mul_lo_u32 v7, s20, v4
	v_mul_hi_u32 v7, v4, v7
	v_add_u32_e32 v4, v4, v7
	v_mul_hi_u32 v4, v5, v4
	v_mul_lo_u32 v7, v4, s18
	v_add_u32_e32 v8, 1, v4
	v_sub_u32_e32 v7, v5, v7
	v_subrev_u32_e32 v10, s18, v7
	v_cmp_le_u32_e32 vcc, s18, v7
	v_cndmask_b32_e32 v7, v7, v10, vcc
	v_cndmask_b32_e32 v4, v4, v8, vcc
	v_add_u32_e32 v8, 1, v4
	v_cmp_le_u32_e32 vcc, s18, v7
	v_cndmask_b32_e32 v7, v4, v8, vcc
	v_mov_b32_e32 v8, v3
.LBB0_6:                                ;   in Loop: Header=BB0_2 Depth=1
	s_or_b64 exec, exec, s[0:1]
	v_mul_lo_u32 v4, v8, s18
	v_mul_lo_u32 v12, v7, s19
	v_mad_u64_u32 v[10:11], s[0:1], v7, s18, 0
	s_load_dwordx2 s[0:1], s[6:7], 0x0
	s_add_u32 s16, s16, 1
	v_add3_u32 v4, v11, v12, v4
	v_sub_co_u32_e32 v5, vcc, v5, v10
	v_subb_co_u32_e32 v4, vcc, v6, v4, vcc
	s_waitcnt lgkmcnt(0)
	v_mul_lo_u32 v4, s0, v4
	v_mul_lo_u32 v6, s1, v5
	v_mad_u64_u32 v[1:2], s[0:1], s0, v5, v[1:2]
	s_addc_u32 s17, s17, 0
	s_add_u32 s6, s6, 8
	v_add3_u32 v2, v6, v2, v4
	v_mov_b32_e32 v4, s10
	v_mov_b32_e32 v5, s11
	s_addc_u32 s7, s7, 0
	v_cmp_ge_u64_e32 vcc, s[16:17], v[4:5]
	s_add_u32 s14, s14, 8
	s_addc_u32 s15, s15, 0
	s_cbranch_vccnz .LBB0_9
; %bb.7:                                ;   in Loop: Header=BB0_2 Depth=1
	v_mov_b32_e32 v5, v7
	v_mov_b32_e32 v6, v8
	s_branch .LBB0_2
.LBB0_8:
	v_mov_b32_e32 v8, v6
	v_mov_b32_e32 v7, v5
.LBB0_9:
	s_lshl_b64 s[0:1], s[10:11], 3
	s_add_u32 s0, s2, s0
	s_addc_u32 s1, s3, s1
	s_load_dwordx2 s[2:3], s[0:1], 0x0
	s_load_dwordx2 s[6:7], s[4:5], 0x20
	v_and_b32_e32 v3, 3, v9
	s_waitcnt lgkmcnt(0)
	v_mad_u64_u32 v[1:2], s[0:1], s2, v7, v[1:2]
	s_mov_b32 s0, 0x8888889
	v_mul_lo_u32 v4, s2, v8
	v_mul_lo_u32 v5, s3, v7
	v_mul_hi_u32 v6, v0, s0
	v_cmp_gt_u64_e64 s[0:1], s[6:7], v[7:8]
	v_cmp_le_u64_e32 vcc, s[6:7], v[7:8]
	v_add3_u32 v2, v5, v2, v4
	v_mul_u32_u24_e32 v4, 30, v6
	v_sub_u32_e32 v40, v0, v4
	v_add_u32_e32 v44, 30, v40
	s_and_saveexec_b64 s[2:3], vcc
	s_xor_b64 s[2:3], exec, s[2:3]
; %bb.10:
	v_add_u32_e32 v44, 30, v40
; %bb.11:
	s_or_saveexec_b64 s[2:3], s[2:3]
	v_mul_u32_u24_e32 v0, 0x1c3, v3
	v_lshlrev_b64 v[42:43], 4, v[1:2]
	v_lshlrev_b32_e32 v48, 4, v0
	v_lshlrev_b32_e32 v45, 4, v40
	s_xor_b64 exec, exec, s[2:3]
	s_cbranch_execz .LBB0_13
; %bb.12:
	v_mov_b32_e32 v41, 0
	v_mov_b32_e32 v0, s13
	v_add_co_u32_e32 v2, vcc, s12, v42
	v_addc_co_u32_e32 v3, vcc, v0, v43, vcc
	v_lshlrev_b64 v[0:1], 4, v[40:41]
	s_movk_i32 s4, 0x1000
	v_add_co_u32_e32 v46, vcc, v2, v0
	v_addc_co_u32_e32 v47, vcc, v3, v1, vcc
	v_add_co_u32_e32 v69, vcc, s4, v46
	global_load_dwordx4 v[0:3], v[46:47], off
	global_load_dwordx4 v[4:7], v[46:47], off offset:480
	global_load_dwordx4 v[8:11], v[46:47], off offset:960
	;; [unrolled: 1-line block ×7, first 2 shown]
	v_addc_co_u32_e32 v70, vcc, 0, v47, vcc
	global_load_dwordx4 v[32:35], v[46:47], off offset:3840
	global_load_dwordx4 v[36:39], v[69:70], off offset:224
	;; [unrolled: 1-line block ×7, first 2 shown]
	v_add3_u32 v41, 0, v48, v45
	s_waitcnt vmcnt(14)
	ds_write_b128 v41, v[0:3]
	s_waitcnt vmcnt(13)
	ds_write_b128 v41, v[4:7] offset:480
	s_waitcnt vmcnt(12)
	ds_write_b128 v41, v[8:11] offset:960
	;; [unrolled: 2-line block ×14, first 2 shown]
.LBB0_13:
	s_or_b64 exec, exec, s[2:3]
	v_add_u32_e32 v0, 0, v45
	v_add_u32_e32 v47, 0, v48
	;; [unrolled: 1-line block ×3, first 2 shown]
	s_waitcnt lgkmcnt(0)
	s_barrier
	v_add_u32_e32 v46, v47, v45
	ds_read_b128 v[8:11], v41 offset:1440
	ds_read_b128 v[12:15], v46
	ds_read_b128 v[0:3], v41 offset:480
	ds_read_b128 v[4:7], v41 offset:1920
	;; [unrolled: 1-line block ×7, first 2 shown]
	s_waitcnt lgkmcnt(7)
	v_add_f64 v[20:21], v[12:13], v[8:9]
	s_waitcnt lgkmcnt(3)
	v_add_f64 v[36:37], v[32:33], v[28:29]
	s_mov_b32 s4, 0x134454ff
	s_mov_b32 s5, 0xbfee6f0e
	;; [unrolled: 1-line block ×4, first 2 shown]
	v_add_f64 v[65:66], v[34:35], -v[30:31]
	s_mov_b32 s2, 0x4755a5e
	v_add_f64 v[38:39], v[20:21], v[32:33]
	ds_read_b128 v[20:23], v41 offset:6240
	s_waitcnt lgkmcnt(1)
	v_add_f64 v[69:70], v[10:11], -v[51:52]
	v_fma_f64 v[36:37], v[36:37], -0.5, v[12:13]
	v_add_f64 v[71:72], v[8:9], v[49:50]
	v_add_f64 v[75:76], v[49:50], -v[28:29]
	v_add_f64 v[77:78], v[10:11], v[51:52]
	s_mov_b32 s3, 0xbfe2cf23
	v_add_f64 v[38:39], v[38:39], v[28:29]
	s_mov_b32 s15, 0x3fe2cf23
	s_mov_b32 s14, s2
	v_fma_f64 v[67:68], v[69:70], s[4:5], v[36:37]
	v_fma_f64 v[36:37], v[69:70], s[6:7], v[36:37]
	v_fma_f64 v[12:13], v[71:72], -0.5, v[12:13]
	v_add_f64 v[71:72], v[34:35], v[30:31]
	v_add_f64 v[81:82], v[28:29], -v[49:50]
	v_add_f64 v[73:74], v[38:39], v[49:50]
	v_add_f64 v[38:39], v[8:9], -v[32:33]
	v_add_f64 v[49:50], v[8:9], -v[49:50]
	v_fma_f64 v[67:68], v[65:66], s[2:3], v[67:68]
	v_fma_f64 v[36:37], v[65:66], s[14:15], v[36:37]
	;; [unrolled: 1-line block ×3, first 2 shown]
	v_fma_f64 v[71:72], v[71:72], -0.5, v[14:15]
	s_mov_b32 s10, 0x372fe950
	s_mov_b32 s11, 0x3fd3c6ef
	v_add_f64 v[38:39], v[38:39], v[75:76]
	v_add_f64 v[75:76], v[14:15], v[10:11]
	v_fma_f64 v[14:15], v[77:78], -0.5, v[14:15]
	v_add_f64 v[77:78], v[32:33], -v[8:9]
	v_add_f64 v[32:33], v[32:33], -v[28:29]
	ds_read_b128 v[53:56], v41 offset:2160
	ds_read_b128 v[57:60], v41 offset:5040
	;; [unrolled: 1-line block ×3, first 2 shown]
	v_fma_f64 v[8:9], v[69:70], s[2:3], v[79:80]
	v_fma_f64 v[12:13], v[65:66], s[4:5], v[12:13]
	;; [unrolled: 1-line block ×3, first 2 shown]
	v_add_f64 v[75:76], v[75:76], v[34:35]
	v_fma_f64 v[85:86], v[38:39], s[10:11], v[36:37]
	v_add_f64 v[77:78], v[77:78], v[81:82]
	v_fma_f64 v[38:39], v[49:50], s[6:7], v[71:72]
	v_fma_f64 v[71:72], v[49:50], s[4:5], v[71:72]
	ds_read_b128 v[65:68], v41 offset:3600
	v_add_f64 v[36:37], v[10:11], -v[34:35]
	v_add_f64 v[34:35], v[34:35], -v[10:11]
	v_add_f64 v[75:76], v[75:76], v[30:31]
	v_add_f64 v[79:80], v[51:52], -v[30:31]
	v_fma_f64 v[81:82], v[32:33], s[4:5], v[14:15]
	v_add_f64 v[87:88], v[30:31], -v[51:52]
	s_waitcnt lgkmcnt(0)
	v_add_f64 v[91:92], v[65:66], v[57:58]
	v_fma_f64 v[99:100], v[32:33], s[6:7], v[14:15]
	v_fma_f64 v[89:90], v[77:78], s[10:11], v[8:9]
	ds_read_b128 v[28:31], v41 offset:4080
	ds_read_b128 v[8:11], v41 offset:5520
	v_fma_f64 v[93:94], v[69:70], s[14:15], v[12:13]
	v_fma_f64 v[97:98], v[32:33], s[2:3], v[71:72]
	ds_read_b128 v[69:72], v41 offset:720
	v_fma_f64 v[95:96], v[32:33], s[14:15], v[38:39]
	v_add_f64 v[79:80], v[36:37], v[79:80]
	v_fma_f64 v[81:82], v[49:50], s[14:15], v[81:82]
	v_add_f64 v[87:88], v[34:35], v[87:88]
	ds_read_b128 v[32:35], v41 offset:1200
	s_waitcnt lgkmcnt(1)
	v_fma_f64 v[91:92], v[91:92], -0.5, v[69:70]
	v_add_f64 v[101:102], v[55:56], -v[63:64]
	v_add_f64 v[75:76], v[75:76], v[51:52]
	v_fma_f64 v[49:50], v[49:50], s[2:3], v[99:100]
	v_add_f64 v[51:52], v[69:70], v[53:54]
	v_fma_f64 v[77:78], v[77:78], s[10:11], v[93:94]
	v_fma_f64 v[93:94], v[79:80], s[10:11], v[95:96]
	;; [unrolled: 1-line block ×5, first 2 shown]
	v_add_f64 v[97:98], v[67:68], -v[59:60]
	v_add_f64 v[99:100], v[53:54], -v[65:66]
	;; [unrolled: 1-line block ×3, first 2 shown]
	v_fma_f64 v[91:92], v[101:102], s[6:7], v[91:92]
	v_add_f64 v[105:106], v[53:54], v[61:62]
	v_fma_f64 v[87:88], v[87:88], s[10:11], v[49:50]
	v_add_f64 v[49:50], v[51:52], v[65:66]
	v_add_f64 v[51:52], v[67:68], v[59:60]
	;; [unrolled: 1-line block ×3, first 2 shown]
	v_fma_f64 v[81:82], v[97:98], s[2:3], v[81:82]
	v_add_f64 v[99:100], v[99:100], v[103:104]
	v_fma_f64 v[91:92], v[97:98], s[14:15], v[91:92]
	v_fma_f64 v[69:70], v[105:106], -0.5, v[69:70]
	v_add_f64 v[103:104], v[65:66], -v[53:54]
	v_add_f64 v[105:106], v[71:72], v[55:56]
	v_fma_f64 v[51:52], v[51:52], -0.5, v[71:72]
	v_fma_f64 v[71:72], v[107:108], -0.5, v[71:72]
	v_add_f64 v[53:54], v[53:54], -v[61:62]
	v_add_f64 v[65:66], v[65:66], -v[57:58]
	;; [unrolled: 1-line block ×5, first 2 shown]
	v_add_f64 v[49:50], v[49:50], v[57:58]
	v_add_f64 v[57:58], v[105:106], v[67:68]
	v_fma_f64 v[67:68], v[99:100], s[10:11], v[81:82]
	v_fma_f64 v[91:92], v[99:100], s[10:11], v[91:92]
	;; [unrolled: 1-line block ×4, first 2 shown]
	v_add_f64 v[111:112], v[59:60], -v[63:64]
	v_fma_f64 v[71:72], v[65:66], s[6:7], v[71:72]
	v_add_f64 v[81:82], v[63:64], -v[59:60]
	v_fma_f64 v[113:114], v[97:98], s[6:7], v[69:70]
	v_fma_f64 v[69:70], v[97:98], s[4:5], v[69:70]
	;; [unrolled: 1-line block ×5, first 2 shown]
	v_add_f64 v[55:56], v[55:56], v[111:112]
	v_fma_f64 v[53:54], v[53:54], s[2:3], v[71:72]
	v_add_f64 v[81:82], v[107:108], v[81:82]
	v_add_f64 v[71:72], v[103:104], v[109:110]
	v_fma_f64 v[103:104], v[101:102], s[2:3], v[113:114]
	v_fma_f64 v[69:70], v[101:102], s[14:15], v[69:70]
	v_add_f64 v[57:58], v[57:58], v[59:60]
	v_fma_f64 v[51:52], v[65:66], s[2:3], v[51:52]
	v_fma_f64 v[65:66], v[55:56], s[10:11], v[99:100]
	v_fma_f64 v[53:54], v[55:56], s[10:11], v[53:54]
	v_fma_f64 v[59:60], v[81:82], s[10:11], v[97:98]
	v_add_f64 v[55:56], v[49:50], v[61:62]
	v_fma_f64 v[49:50], v[71:72], s[10:11], v[103:104]
	v_fma_f64 v[61:62], v[71:72], s[10:11], v[69:70]
	v_add_f64 v[57:58], v[57:58], v[63:64]
	v_fma_f64 v[63:64], v[81:82], s[10:11], v[51:52]
	v_mul_f64 v[81:82], v[67:68], s[14:15]
	v_mul_f64 v[71:72], v[53:54], s[4:5]
	;; [unrolled: 1-line block ×5, first 2 shown]
	s_mov_b32 s21, 0xbfd3c6ef
	s_mov_b32 s20, s10
	;; [unrolled: 1-line block ×3, first 2 shown]
	v_mul_f64 v[53:54], v[53:54], s[20:21]
	s_mov_b32 s19, 0x3fe9e377
	s_mov_b32 s23, 0xbfe9e377
	;; [unrolled: 1-line block ×3, first 2 shown]
	v_fma_f64 v[81:82], v[59:60], s[18:19], v[81:82]
	v_fma_f64 v[99:100], v[61:62], s[20:21], v[71:72]
	v_mul_f64 v[71:72], v[63:64], s[2:3]
	v_mul_f64 v[103:104], v[63:64], s[22:23]
	v_fma_f64 v[67:68], v[67:68], s[18:19], v[51:52]
	v_fma_f64 v[69:70], v[49:50], s[10:11], v[69:70]
	;; [unrolled: 1-line block ×4, first 2 shown]
	v_add_f64 v[59:60], v[93:94], v[81:82]
	v_add_f64 v[63:64], v[93:94], -v[81:82]
	v_fma_f64 v[93:94], v[91:92], s[22:23], v[71:72]
	v_fma_f64 v[91:92], v[91:92], s[14:15], v[103:104]
	v_add_f64 v[49:50], v[73:74], v[55:56]
	v_add_f64 v[51:52], v[75:76], v[57:58]
	v_add_f64 v[53:54], v[73:74], -v[55:56]
	v_add_f64 v[55:56], v[75:76], -v[57:58]
	v_add_f64 v[57:58], v[83:84], v[67:68]
	v_add_f64 v[61:62], v[83:84], -v[67:68]
	v_add_f64 v[65:66], v[89:90], v[69:70]
	v_add_f64 v[67:68], v[79:80], v[97:98]
	ds_read_b128 v[36:39], v41 offset:2640
	ds_read_b128 v[12:15], v41 offset:6960
	v_add_f64 v[73:74], v[77:78], v[99:100]
	v_add_f64 v[75:76], v[87:88], v[101:102]
	;; [unrolled: 1-line block ×4, first 2 shown]
	v_add_f64 v[69:70], v[89:90], -v[69:70]
	v_mul_u32_u24_e32 v89, 10, v40
	v_add_f64 v[71:72], v[79:80], -v[97:98]
	v_lshl_add_u32 v89, v89, 4, v47
	v_cmp_gt_u32_e32 vcc, 15, v40
	v_add_f64 v[77:78], v[77:78], -v[99:100]
	v_add_f64 v[79:80], v[87:88], -v[101:102]
	v_add_f64 v[85:86], v[85:86], -v[93:94]
	v_add_f64 v[87:88], v[95:96], -v[91:92]
	s_waitcnt lgkmcnt(0)
	s_barrier
	ds_write_b128 v89, v[49:52]
	ds_write_b128 v89, v[57:60] offset:16
	ds_write_b128 v89, v[65:68] offset:32
	;; [unrolled: 1-line block ×9, first 2 shown]
	s_and_saveexec_b64 s[16:17], vcc
	s_cbranch_execz .LBB0_15
; %bb.14:
	v_add_f64 v[63:64], v[30:31], v[10:11]
	v_add_f64 v[71:72], v[38:39], v[14:15]
	v_add_f64 v[69:70], v[36:37], -v[12:13]
	v_add_f64 v[75:76], v[36:37], v[12:13]
	v_add_f64 v[79:80], v[28:29], -v[8:9]
	;; [unrolled: 2-line block ×3, first 2 shown]
	v_add_f64 v[81:82], v[14:15], -v[10:11]
	v_fma_f64 v[63:64], v[63:64], -0.5, v[34:35]
	v_fma_f64 v[71:72], v[71:72], -0.5, v[34:35]
	v_add_f64 v[85:86], v[6:7], v[22:23]
	v_add_f64 v[87:88], v[30:31], -v[10:11]
	v_fma_f64 v[75:76], v[75:76], -0.5, v[32:33]
	v_add_f64 v[89:90], v[30:31], -v[38:39]
	v_add_f64 v[91:92], v[10:11], -v[14:15]
	;; [unrolled: 1-line block ×3, first 2 shown]
	v_fma_f64 v[83:84], v[69:70], s[4:5], v[63:64]
	v_fma_f64 v[93:94], v[79:80], s[6:7], v[71:72]
	v_add_f64 v[55:56], v[36:37], -v[28:29]
	v_add_f64 v[59:60], v[12:13], -v[8:9]
	;; [unrolled: 1-line block ×3, first 2 shown]
	v_fma_f64 v[49:50], v[49:50], -0.5, v[2:3]
	v_add_f64 v[67:68], v[16:17], -v[24:25]
	v_add_f64 v[77:78], v[77:78], v[81:82]
	v_fma_f64 v[81:82], v[79:80], s[2:3], v[83:84]
	v_fma_f64 v[83:84], v[85:86], -0.5, v[2:3]
	v_add_f64 v[85:86], v[28:29], -v[36:37]
	v_add_f64 v[95:96], v[8:9], -v[12:13]
	v_fma_f64 v[97:98], v[87:88], s[4:5], v[75:76]
	v_add_f64 v[89:90], v[89:90], v[91:92]
	v_fma_f64 v[91:92], v[69:70], s[2:3], v[93:94]
	v_add_f64 v[51:52], v[28:29], v[8:9]
	v_add_f64 v[53:54], v[6:7], -v[18:19]
	v_add_f64 v[65:66], v[22:23], -v[26:27]
	v_add_f64 v[59:60], v[55:56], v[59:60]
	v_fma_f64 v[55:56], v[57:58], s[4:5], v[49:50]
	v_add_f64 v[93:94], v[18:19], -v[6:7]
	v_add_f64 v[99:100], v[26:27], -v[22:23]
	v_fma_f64 v[101:102], v[67:68], s[6:7], v[83:84]
	v_add_f64 v[85:86], v[85:86], v[95:96]
	v_fma_f64 v[95:96], v[61:62], s[14:15], v[97:98]
	v_fma_f64 v[91:92], v[89:90], s[10:11], v[91:92]
	v_fma_f64 v[51:52], v[51:52], -0.5, v[32:33]
	v_add_f64 v[53:54], v[53:54], v[65:66]
	v_fma_f64 v[55:56], v[67:68], s[2:3], v[55:56]
	v_add_f64 v[93:94], v[93:94], v[99:100]
	v_fma_f64 v[97:98], v[57:58], s[2:3], v[101:102]
	v_fma_f64 v[75:76], v[87:88], s[6:7], v[75:76]
	;; [unrolled: 1-line block ×3, first 2 shown]
	v_mul_f64 v[99:100], v[91:92], s[20:21]
	v_fma_f64 v[73:74], v[61:62], s[6:7], v[51:52]
	v_fma_f64 v[83:84], v[67:68], s[4:5], v[83:84]
	;; [unrolled: 1-line block ×6, first 2 shown]
	v_add_f64 v[2:3], v[2:3], v[6:7]
	v_fma_f64 v[97:98], v[95:96], s[6:7], v[99:100]
	v_fma_f64 v[99:100], v[61:62], s[4:5], v[51:52]
	;; [unrolled: 1-line block ×3, first 2 shown]
	v_add_f64 v[34:35], v[34:35], v[38:39]
	v_fma_f64 v[103:104], v[69:70], s[14:15], v[55:56]
	v_fma_f64 v[73:74], v[87:88], s[14:15], v[73:74]
	;; [unrolled: 1-line block ×6, first 2 shown]
	v_add_f64 v[87:88], v[16:17], v[24:25]
	v_add_f64 v[2:3], v[2:3], v[18:19]
	v_fma_f64 v[69:70], v[89:90], s[10:11], v[103:104]
	v_add_f64 v[30:31], v[34:35], v[30:31]
	v_add_f64 v[6:7], v[6:7], -v[22:23]
	v_fma_f64 v[65:66], v[59:60], s[10:11], v[73:74]
	v_fma_f64 v[61:62], v[85:86], s[10:11], v[61:62]
	;; [unrolled: 1-line block ×3, first 2 shown]
	v_fma_f64 v[63:64], v[87:88], -0.5, v[0:1]
	v_fma_f64 v[49:50], v[67:68], s[14:15], v[49:50]
	v_mul_f64 v[59:60], v[69:70], s[10:11]
	v_fma_f64 v[34:35], v[77:78], s[10:11], v[38:39]
	v_add_f64 v[2:3], v[2:3], v[26:27]
	v_add_f64 v[38:39], v[4:5], -v[16:17]
	v_add_f64 v[75:76], v[20:21], -v[24:25]
	v_mul_f64 v[67:68], v[57:58], s[14:15]
	v_add_f64 v[79:80], v[4:5], v[20:21]
	v_add_f64 v[10:11], v[30:31], v[10:11]
	v_fma_f64 v[81:82], v[77:78], s[10:11], v[81:82]
	v_fma_f64 v[77:78], v[6:7], s[6:7], v[63:64]
	v_add_f64 v[18:19], v[18:19], -v[26:27]
	v_fma_f64 v[26:27], v[61:62], s[6:7], v[59:60]
	v_fma_f64 v[30:31], v[53:54], s[10:11], v[49:50]
	;; [unrolled: 1-line block ×3, first 2 shown]
	v_add_f64 v[67:68], v[2:3], v[22:23]
	v_add_f64 v[2:3], v[38:39], v[75:76]
	v_fma_f64 v[22:23], v[79:80], -0.5, v[0:1]
	v_add_f64 v[75:76], v[10:11], v[14:15]
	v_add_f64 v[14:15], v[16:17], -v[4:5]
	v_add_f64 v[0:1], v[0:1], v[4:5]
	v_add_f64 v[4:5], v[32:33], v[36:37]
	v_fma_f64 v[38:39], v[18:19], s[14:15], v[77:78]
	v_mul_f64 v[10:11], v[81:82], s[2:3]
	v_add_f64 v[49:50], v[24:25], -v[20:21]
	v_fma_f64 v[32:33], v[18:19], s[4:5], v[22:23]
	v_fma_f64 v[22:23], v[18:19], s[6:7], v[22:23]
	v_mul_f64 v[73:74], v[81:82], s[22:23]
	v_add_f64 v[0:1], v[0:1], v[16:17]
	v_add_f64 v[4:5], v[4:5], v[28:29]
	v_fma_f64 v[36:37], v[2:3], s[10:11], v[38:39]
	v_fma_f64 v[38:39], v[65:66], s[22:23], v[10:11]
	;; [unrolled: 1-line block ×3, first 2 shown]
	v_add_f64 v[14:15], v[14:15], v[49:50]
	v_fma_f64 v[16:17], v[6:7], s[14:15], v[32:33]
	v_fma_f64 v[6:7], v[6:7], s[2:3], v[22:23]
	v_add_f64 v[0:1], v[0:1], v[24:25]
	v_add_f64 v[4:5], v[4:5], v[8:9]
	v_mul_f64 v[22:23], v[69:70], s[4:5]
	v_mul_f64 v[28:29], v[91:92], s[4:5]
	v_fma_f64 v[10:11], v[18:19], s[2:3], v[10:11]
	v_mul_f64 v[18:19], v[34:35], s[2:3]
	v_fma_f64 v[83:84], v[93:94], s[10:11], v[83:84]
	v_fma_f64 v[34:35], v[14:15], s[10:11], v[6:7]
	v_add_f64 v[20:21], v[0:1], v[20:21]
	v_add_f64 v[12:13], v[4:5], v[12:13]
	v_fma_f64 v[61:62], v[61:62], s[10:11], v[22:23]
	v_fma_f64 v[16:17], v[14:15], s[10:11], v[16:17]
	;; [unrolled: 1-line block ×6, first 2 shown]
	v_add_f64 v[2:3], v[83:84], -v[26:27]
	v_add_f64 v[6:7], v[30:31], -v[59:60]
	v_add_f64 v[22:23], v[83:84], v[26:27]
	v_add_f64 v[26:27], v[30:31], v[59:60]
	;; [unrolled: 1-line block ×4, first 2 shown]
	v_add_f64 v[4:5], v[24:25], -v[57:58]
	v_add_f64 v[24:25], v[24:25], v[57:58]
	v_add_f64 v[8:9], v[20:21], -v[12:13]
	v_add_f64 v[20:21], v[34:35], v[61:62]
	;; [unrolled: 2-line block ×3, first 2 shown]
	v_add_f64 v[16:17], v[16:17], v[32:33]
	v_add_f64 v[14:15], v[101:102], v[73:74]
	;; [unrolled: 1-line block ×3, first 2 shown]
	v_add_f64 v[10:11], v[67:68], -v[75:76]
	v_mul_i32_i24_e32 v32, 10, v44
	v_lshlrev_b32_e32 v32, 4, v32
	v_add_f64 v[0:1], v[34:35], -v[61:62]
	v_add3_u32 v32, 0, v32, v48
	v_add_f64 v[51:52], v[101:102], -v[73:74]
	v_add_f64 v[55:56], v[71:72], -v[97:98]
	v_add_f64 v[49:50], v[36:37], -v[38:39]
	ds_write_b128 v32, v[28:31]
	ds_write_b128 v32, v[24:27] offset:16
	ds_write_b128 v32, v[20:23] offset:32
	;; [unrolled: 1-line block ×9, first 2 shown]
.LBB0_15:
	s_or_b64 exec, exec, s[16:17]
	s_movk_i32 s16, 0xcd
	v_mul_lo_u16_sdwa v0, v40, s16 dst_sel:DWORD dst_unused:UNUSED_PAD src0_sel:BYTE_0 src1_sel:DWORD
	v_lshrrev_b16_e32 v0, 11, v0
	v_mul_lo_u16_e32 v1, 10, v0
	v_sub_u16_e32 v1, v40, v1
	v_mov_b32_e32 v4, 6
	v_lshlrev_b32_sdwa v2, v4, v1 dst_sel:DWORD dst_unused:UNUSED_PAD src0_sel:DWORD src1_sel:BYTE_0
	s_waitcnt lgkmcnt(0)
	s_barrier
	global_load_dwordx4 v[8:11], v2, s[8:9]
	global_load_dwordx4 v[12:15], v2, s[8:9] offset:16
	global_load_dwordx4 v[16:19], v2, s[8:9] offset:32
	global_load_dwordx4 v[20:23], v2, s[8:9] offset:48
	v_mul_lo_u16_sdwa v3, v44, s16 dst_sel:DWORD dst_unused:UNUSED_PAD src0_sel:BYTE_0 src1_sel:DWORD
	v_lshrrev_b16_e32 v2, 11, v3
	v_mul_lo_u16_e32 v3, 10, v2
	v_sub_u16_e32 v3, v44, v3
	v_lshlrev_b32_sdwa v6, v4, v3 dst_sel:DWORD dst_unused:UNUSED_PAD src0_sel:DWORD src1_sel:BYTE_0
	global_load_dwordx4 v[24:27], v6, s[8:9]
	global_load_dwordx4 v[28:31], v6, s[8:9] offset:16
	global_load_dwordx4 v[32:35], v6, s[8:9] offset:48
	;; [unrolled: 1-line block ×3, first 2 shown]
	v_add_u32_e32 v5, 60, v40
	v_mul_lo_u16_sdwa v6, v5, s16 dst_sel:DWORD dst_unused:UNUSED_PAD src0_sel:BYTE_0 src1_sel:DWORD
	v_lshrrev_b16_e32 v6, 11, v6
	v_mul_lo_u16_e32 v7, 10, v6
	v_sub_u16_e32 v7, v5, v7
	v_lshlrev_b32_sdwa v4, v4, v7 dst_sel:DWORD dst_unused:UNUSED_PAD src0_sel:DWORD src1_sel:BYTE_0
	global_load_dwordx4 v[49:52], v4, s[8:9]
	global_load_dwordx4 v[53:56], v4, s[8:9] offset:16
	global_load_dwordx4 v[57:60], v4, s[8:9] offset:32
	;; [unrolled: 1-line block ×3, first 2 shown]
	ds_read_b128 v[65:68], v41 offset:1440
	ds_read_b128 v[69:72], v41 offset:1920
	;; [unrolled: 1-line block ×4, first 2 shown]
	ds_read_b128 v[81:84], v46
	ds_read_b128 v[85:88], v41 offset:960
	ds_read_b128 v[89:92], v41 offset:2880
	;; [unrolled: 1-line block ×7, first 2 shown]
	v_lshlrev_b32_e32 v4, 4, v44
	v_add3_u32 v4, 0, v4, v48
	s_waitcnt vmcnt(11) lgkmcnt(11)
	v_mul_f64 v[113:114], v[67:68], v[10:11]
	v_mul_f64 v[10:11], v[65:66], v[10:11]
	s_waitcnt vmcnt(10) lgkmcnt(5)
	v_mul_f64 v[115:116], v[91:92], v[14:15]
	s_waitcnt vmcnt(9)
	v_mul_f64 v[117:118], v[75:76], v[18:19]
	v_mul_f64 v[14:15], v[89:90], v[14:15]
	;; [unrolled: 1-line block ×3, first 2 shown]
	v_fma_f64 v[65:66], v[65:66], v[8:9], v[113:114]
	s_waitcnt vmcnt(8) lgkmcnt(1)
	v_mul_f64 v[113:114], v[107:108], v[22:23]
	v_mul_f64 v[22:23], v[105:106], v[22:23]
	v_fma_f64 v[89:90], v[89:90], v[12:13], v[115:116]
	v_fma_f64 v[73:74], v[73:74], v[16:17], v[117:118]
	s_waitcnt vmcnt(7)
	v_mul_f64 v[115:116], v[71:72], v[26:27]
	v_mul_f64 v[26:27], v[69:70], v[26:27]
	s_waitcnt vmcnt(6)
	v_mul_f64 v[117:118], v[99:100], v[30:31]
	v_fma_f64 v[67:68], v[67:68], v[8:9], -v[10:11]
	v_fma_f64 v[105:106], v[105:106], v[20:21], v[113:114]
	v_fma_f64 v[22:23], v[107:108], v[20:21], -v[22:23]
	v_mul_f64 v[20:21], v[97:98], v[30:31]
	s_waitcnt vmcnt(4)
	v_mul_f64 v[30:31], v[79:80], v[38:39]
	v_fma_f64 v[91:92], v[91:92], v[12:13], -v[14:15]
	ds_read_b128 v[8:11], v41 offset:6240
	ds_read_b128 v[12:15], v41 offset:6720
	v_mul_f64 v[38:39], v[77:78], v[38:39]
	v_fma_f64 v[69:70], v[69:70], v[24:25], v[115:116]
	v_fma_f64 v[71:72], v[71:72], v[24:25], -v[26:27]
	s_waitcnt lgkmcnt(1)
	v_mul_f64 v[107:108], v[10:11], v[34:35]
	v_mul_f64 v[24:25], v[8:9], v[34:35]
	s_waitcnt vmcnt(3)
	v_mul_f64 v[26:27], v[95:96], v[51:52]
	v_mul_f64 v[34:35], v[93:94], v[51:52]
	s_waitcnt vmcnt(2)
	v_mul_f64 v[51:52], v[103:104], v[55:56]
	v_fma_f64 v[99:100], v[99:100], v[28:29], -v[20:21]
	v_mul_f64 v[20:21], v[101:102], v[55:56]
	s_waitcnt vmcnt(1)
	v_mul_f64 v[55:56], v[109:110], v[59:60]
	v_fma_f64 v[77:78], v[77:78], v[36:37], v[30:31]
	s_waitcnt vmcnt(0) lgkmcnt(0)
	v_mul_f64 v[30:31], v[12:13], v[63:64]
	v_fma_f64 v[75:76], v[75:76], v[16:17], -v[18:19]
	v_fma_f64 v[97:98], v[97:98], v[28:29], v[117:118]
	v_mul_f64 v[28:29], v[111:112], v[59:60]
	v_mul_f64 v[59:60], v[14:15], v[63:64]
	v_fma_f64 v[38:39], v[79:80], v[36:37], -v[38:39]
	v_fma_f64 v[36:37], v[8:9], v[32:33], v[107:108]
	v_fma_f64 v[63:64], v[10:11], v[32:33], -v[24:25]
	v_fma_f64 v[107:108], v[111:112], v[57:58], -v[55:56]
	;; [unrolled: 1-line block ×3, first 2 shown]
	v_add_f64 v[10:11], v[89:90], v[73:74]
	v_add_f64 v[14:15], v[65:66], v[105:106]
	v_fma_f64 v[79:80], v[93:94], v[49:50], v[26:27]
	v_fma_f64 v[93:94], v[95:96], v[49:50], -v[34:35]
	v_fma_f64 v[95:96], v[101:102], v[53:54], v[51:52]
	v_fma_f64 v[101:102], v[103:104], v[53:54], -v[20:21]
	v_fma_f64 v[103:104], v[109:110], v[57:58], v[28:29]
	v_fma_f64 v[109:110], v[12:13], v[61:62], v[59:60]
	v_add_f64 v[12:13], v[67:68], -v[22:23]
	v_add_f64 v[20:21], v[91:92], -v[75:76]
	v_add_f64 v[24:25], v[65:66], -v[89:90]
	v_add_f64 v[26:27], v[105:106], -v[73:74]
	v_fma_f64 v[10:11], v[10:11], -0.5, v[81:82]
	v_fma_f64 v[14:15], v[14:15], -0.5, v[81:82]
	v_add_f64 v[28:29], v[89:90], -v[65:66]
	v_add_f64 v[30:31], v[73:74], -v[105:106]
	v_add_f64 v[32:33], v[83:84], v[67:68]
	v_add_f64 v[34:35], v[91:92], v[75:76]
	v_add_f64 v[49:50], v[65:66], -v[105:106]
	v_add_f64 v[24:25], v[24:25], v[26:27]
	v_fma_f64 v[26:27], v[12:13], s[4:5], v[10:11]
	v_fma_f64 v[10:11], v[12:13], s[6:7], v[10:11]
	;; [unrolled: 1-line block ×4, first 2 shown]
	v_add_f64 v[30:31], v[28:29], v[30:31]
	v_add_f64 v[28:29], v[32:33], v[91:92]
	v_fma_f64 v[34:35], v[34:35], -0.5, v[83:84]
	v_add_f64 v[51:52], v[89:90], -v[73:74]
	v_fma_f64 v[26:27], v[20:21], s[2:3], v[26:27]
	v_fma_f64 v[32:33], v[20:21], s[14:15], v[10:11]
	v_fma_f64 v[53:54], v[12:13], s[2:3], v[53:54]
	v_fma_f64 v[11:12], v[12:13], s[14:15], v[14:15]
	v_add_f64 v[13:14], v[67:68], v[22:23]
	v_add_f64 v[55:56], v[28:29], v[75:76]
	v_fma_f64 v[57:58], v[49:50], s[6:7], v[34:35]
	ds_read_b128 v[16:19], v4
	v_fma_f64 v[20:21], v[24:25], s[10:11], v[26:27]
	v_fma_f64 v[24:25], v[24:25], s[10:11], v[32:33]
	;; [unrolled: 1-line block ×4, first 2 shown]
	v_fma_f64 v[13:14], v[13:14], -0.5, v[83:84]
	v_add_f64 v[11:12], v[55:56], v[22:23]
	v_fma_f64 v[26:27], v[51:52], s[14:15], v[57:58]
	v_add_f64 v[30:31], v[67:68], -v[91:92]
	v_add_f64 v[53:54], v[22:23], -v[75:76]
	s_waitcnt lgkmcnt(0)
	v_add_f64 v[55:56], v[16:17], v[69:70]
	v_fma_f64 v[34:35], v[49:50], s[4:5], v[34:35]
	v_add_f64 v[57:58], v[97:98], v[77:78]
	v_fma_f64 v[59:60], v[51:52], s[4:5], v[13:14]
	v_fma_f64 v[13:14], v[51:52], s[6:7], v[13:14]
	v_add_f64 v[8:9], v[81:82], v[65:66]
	v_add_f64 v[61:62], v[91:92], -v[67:68]
	v_add_f64 v[22:23], v[75:76], -v[22:23]
	v_add_f64 v[30:31], v[30:31], v[53:54]
	v_add_f64 v[53:54], v[55:56], v[97:98]
	v_fma_f64 v[34:35], v[51:52], s[2:3], v[34:35]
	v_fma_f64 v[51:52], v[57:58], -0.5, v[16:17]
	v_add_f64 v[55:56], v[71:72], -v[63:64]
	v_fma_f64 v[57:58], v[49:50], s[14:15], v[59:60]
	v_fma_f64 v[13:14], v[49:50], s[2:3], v[13:14]
	v_add_f64 v[49:50], v[69:70], v[36:37]
	v_add_f64 v[8:9], v[8:9], v[89:90]
	v_add_f64 v[59:60], v[61:62], v[22:23]
	v_add_f64 v[53:54], v[53:54], v[77:78]
	v_add_f64 v[65:66], v[99:100], -v[38:39]
	v_fma_f64 v[61:62], v[55:56], s[4:5], v[51:52]
	v_fma_f64 v[22:23], v[30:31], s[10:11], v[26:27]
	;; [unrolled: 1-line block ×3, first 2 shown]
	v_fma_f64 v[15:16], v[49:50], -0.5, v[16:17]
	v_add_f64 v[8:9], v[8:9], v[73:74]
	v_fma_f64 v[30:31], v[59:60], s[10:11], v[57:58]
	v_fma_f64 v[34:35], v[59:60], s[10:11], v[13:14]
	v_add_f64 v[13:14], v[53:54], v[36:37]
	v_add_f64 v[49:50], v[69:70], -v[97:98]
	v_add_f64 v[53:54], v[36:37], -v[77:78]
	v_fma_f64 v[51:52], v[55:56], s[6:7], v[51:52]
	v_fma_f64 v[57:58], v[65:66], s[2:3], v[61:62]
	v_add_f64 v[59:60], v[18:19], v[71:72]
	v_add_f64 v[61:62], v[99:100], v[38:39]
	v_fma_f64 v[67:68], v[65:66], s[6:7], v[15:16]
	v_add_f64 v[73:74], v[97:98], -v[69:70]
	v_add_f64 v[75:76], v[77:78], -v[36:37]
	v_fma_f64 v[15:16], v[65:66], s[4:5], v[15:16]
	v_add_f64 v[49:50], v[49:50], v[53:54]
	v_fma_f64 v[51:52], v[65:66], s[14:15], v[51:52]
	v_add_f64 v[53:54], v[59:60], v[99:100]
	v_fma_f64 v[59:60], v[61:62], -0.5, v[18:19]
	v_add_f64 v[61:62], v[69:70], -v[36:37]
	v_fma_f64 v[65:66], v[55:56], s[2:3], v[67:68]
	v_add_f64 v[67:68], v[73:74], v[75:76]
	v_fma_f64 v[15:16], v[55:56], s[14:15], v[15:16]
	v_add_f64 v[55:56], v[71:72], v[63:64]
	v_fma_f64 v[36:37], v[49:50], s[10:11], v[57:58]
	v_fma_f64 v[49:50], v[49:50], s[10:11], v[51:52]
	v_add_f64 v[51:52], v[53:54], v[38:39]
	v_fma_f64 v[69:70], v[61:62], s[6:7], v[59:60]
	v_add_f64 v[73:74], v[97:98], -v[77:78]
	v_fma_f64 v[53:54], v[67:68], s[10:11], v[65:66]
	v_add_f64 v[65:66], v[95:96], v[103:104]
	v_add_f64 v[75:76], v[71:72], -v[99:100]
	v_add_f64 v[77:78], v[63:64], -v[38:39]
	v_fma_f64 v[17:18], v[55:56], -0.5, v[18:19]
	v_fma_f64 v[57:58], v[67:68], s[10:11], v[15:16]
	v_add_f64 v[15:16], v[51:52], v[63:64]
	v_fma_f64 v[51:52], v[73:74], s[14:15], v[69:70]
	v_add_f64 v[69:70], v[93:94], -v[111:112]
	v_fma_f64 v[67:68], v[65:66], -0.5, v[85:86]
	v_fma_f64 v[59:60], v[61:62], s[4:5], v[59:60]
	v_add_f64 v[65:66], v[75:76], v[77:78]
	v_fma_f64 v[75:76], v[73:74], s[4:5], v[17:18]
	v_add_f64 v[71:72], v[99:100], -v[71:72]
	v_add_f64 v[38:39], v[38:39], -v[63:64]
	v_fma_f64 v[17:18], v[73:74], s[6:7], v[17:18]
	v_add_f64 v[55:56], v[85:86], v[79:80]
	v_fma_f64 v[63:64], v[69:70], s[4:5], v[67:68]
	v_add_f64 v[77:78], v[101:102], -v[107:108]
	v_add_f64 v[81:82], v[79:80], -v[95:96]
	;; [unrolled: 1-line block ×3, first 2 shown]
	v_fma_f64 v[59:60], v[73:74], s[2:3], v[59:60]
	v_add_f64 v[71:72], v[71:72], v[38:39]
	v_fma_f64 v[17:18], v[61:62], s[2:3], v[17:18]
	v_add_f64 v[55:56], v[55:56], v[95:96]
	;; [unrolled: 2-line block ×4, first 2 shown]
	v_fma_f64 v[38:39], v[65:66], s[10:11], v[51:52]
	v_fma_f64 v[51:52], v[65:66], s[10:11], v[59:60]
	;; [unrolled: 1-line block ×3, first 2 shown]
	v_add_f64 v[17:18], v[101:102], v[107:108]
	v_add_f64 v[61:62], v[55:56], v[103:104]
	v_fma_f64 v[55:56], v[71:72], s[10:11], v[75:76]
	v_add_f64 v[75:76], v[93:94], v[111:112]
	v_fma_f64 v[73:74], v[73:74], -0.5, v[85:86]
	v_fma_f64 v[65:66], v[81:82], s[10:11], v[63:64]
	v_fma_f64 v[63:64], v[69:70], s[6:7], v[67:68]
	v_add_f64 v[85:86], v[87:88], v[93:94]
	v_add_f64 v[71:72], v[95:96], -v[79:80]
	v_add_f64 v[83:84], v[103:104], -v[109:110]
	v_fma_f64 v[17:18], v[17:18], -0.5, v[87:88]
	v_add_f64 v[79:80], v[79:80], -v[109:110]
	v_add_f64 v[89:90], v[95:96], -v[103:104]
	v_fma_f64 v[75:76], v[75:76], -0.5, v[87:88]
	v_fma_f64 v[67:68], v[77:78], s[6:7], v[73:74]
	v_fma_f64 v[63:64], v[77:78], s[14:15], v[63:64]
	;; [unrolled: 1-line block ×3, first 2 shown]
	v_add_f64 v[77:78], v[85:86], v[101:102]
	v_add_f64 v[71:72], v[71:72], v[83:84]
	v_fma_f64 v[83:84], v[79:80], s[6:7], v[17:18]
	v_add_f64 v[85:86], v[93:94], -v[101:102]
	v_add_f64 v[87:88], v[111:112], -v[107:108]
	v_fma_f64 v[17:18], v[79:80], s[4:5], v[17:18]
	v_fma_f64 v[91:92], v[89:90], s[4:5], v[75:76]
	v_add_f64 v[93:94], v[101:102], -v[93:94]
	v_add_f64 v[95:96], v[107:108], -v[111:112]
	v_fma_f64 v[75:76], v[89:90], s[6:7], v[75:76]
	v_add_f64 v[99:100], v[77:78], v[107:108]
	v_fma_f64 v[67:68], v[69:70], s[2:3], v[67:68]
	v_fma_f64 v[83:84], v[89:90], s[14:15], v[83:84]
	v_add_f64 v[85:86], v[85:86], v[87:88]
	v_fma_f64 v[17:18], v[89:90], s[2:3], v[17:18]
	;; [unrolled: 3-line block ×3, first 2 shown]
	v_fma_f64 v[79:80], v[79:80], s[2:3], v[75:76]
	v_add_f64 v[9:10], v[8:9], v[105:106]
	v_add_f64 v[61:62], v[61:62], v[109:110]
	v_fma_f64 v[69:70], v[81:82], s[10:11], v[63:64]
	v_add_f64 v[63:64], v[99:100], v[111:112]
	v_fma_f64 v[73:74], v[71:72], s[10:11], v[67:68]
	v_fma_f64 v[67:68], v[85:86], s[10:11], v[83:84]
	s_movk_i32 s2, 0x320
	v_mov_b32_e32 v8, 4
	v_fma_f64 v[75:76], v[89:90], s[10:11], v[87:88]
	v_mad_u32_u24 v0, v0, s2, 0
	v_lshlrev_b32_sdwa v1, v8, v1 dst_sel:DWORD dst_unused:UNUSED_PAD src0_sel:DWORD src1_sel:BYTE_0
	v_fma_f64 v[77:78], v[71:72], s[10:11], v[97:98]
	v_fma_f64 v[79:80], v[89:90], s[10:11], v[79:80]
	v_add3_u32 v0, v0, v1, v48
	v_fma_f64 v[71:72], v[85:86], s[10:11], v[17:18]
	s_barrier
	ds_write_b128 v0, v[9:12]
	ds_write_b128 v0, v[20:23] offset:160
	ds_write_b128 v0, v[28:31] offset:320
	;; [unrolled: 1-line block ×4, first 2 shown]
	v_mad_u32_u24 v0, v2, s2, 0
	v_lshlrev_b32_sdwa v1, v8, v3 dst_sel:DWORD dst_unused:UNUSED_PAD src0_sel:DWORD src1_sel:BYTE_0
	v_add3_u32 v0, v0, v1, v48
	ds_write_b128 v0, v[13:16]
	ds_write_b128 v0, v[36:39] offset:160
	ds_write_b128 v0, v[53:56] offset:320
	;; [unrolled: 1-line block ×4, first 2 shown]
	v_mad_u32_u24 v0, v6, s2, 0
	v_lshlrev_b32_sdwa v1, v8, v7 dst_sel:DWORD dst_unused:UNUSED_PAD src0_sel:DWORD src1_sel:BYTE_0
	v_add3_u32 v0, v0, v1, v48
	ds_write_b128 v0, v[61:64]
	ds_write_b128 v0, v[65:68] offset:160
	ds_write_b128 v0, v[73:76] offset:320
	;; [unrolled: 1-line block ×4, first 2 shown]
	v_lshlrev_b32_e32 v0, 1, v40
	v_mov_b32_e32 v1, 0
	v_lshlrev_b64 v[2:3], 4, v[0:1]
	v_mov_b32_e32 v6, s9
	v_add_co_u32_e64 v2, s[2:3], s8, v2
	v_addc_co_u32_e64 v3, s[2:3], v6, v3, s[2:3]
	s_waitcnt lgkmcnt(0)
	s_barrier
	global_load_dwordx4 v[10:13], v[2:3], off offset:656
	global_load_dwordx4 v[14:17], v[2:3], off offset:640
	v_subrev_u32_e32 v9, 20, v40
	v_cmp_gt_u32_e64 s[2:3], 20, v40
	v_cndmask_b32_e64 v113, v9, v44, s[2:3]
	v_lshlrev_b32_e32 v18, 1, v113
	v_mov_b32_e32 v19, v1
	v_lshlrev_b64 v[18:19], 4, v[18:19]
	v_add_u32_e32 v0, 20, v0
	v_add_co_u32_e64 v26, s[2:3], s8, v18
	v_addc_co_u32_e64 v27, s[2:3], v6, v19, s[2:3]
	global_load_dwordx4 v[18:21], v[26:27], off offset:656
	global_load_dwordx4 v[22:25], v[26:27], off offset:640
	v_add_u32_e32 v7, 0x5a, v40
	v_lshlrev_b64 v[26:27], 4, v[0:1]
	v_mov_b32_e32 v0, 41
	v_mul_lo_u16_sdwa v9, v7, v0 dst_sel:DWORD dst_unused:UNUSED_PAD src0_sel:BYTE_0 src1_sel:DWORD
	v_add_co_u32_e64 v34, s[2:3], s8, v26
	v_lshrrev_b16_e32 v114, 11, v9
	v_addc_co_u32_e64 v35, s[2:3], v6, v27, s[2:3]
	v_mul_lo_u16_e32 v9, 50, v114
	global_load_dwordx4 v[26:29], v[34:35], off offset:656
	global_load_dwordx4 v[30:33], v[34:35], off offset:640
	v_sub_u16_e32 v115, v7, v9
	v_mov_b32_e32 v38, 5
	v_lshlrev_b32_sdwa v9, v38, v115 dst_sel:DWORD dst_unused:UNUSED_PAD src0_sel:DWORD src1_sel:BYTE_0
	global_load_dwordx4 v[34:37], v9, s[8:9] offset:640
	global_load_dwordx4 v[49:52], v9, s[8:9] offset:656
	v_add_u32_e32 v9, 0x78, v40
	v_mul_lo_u16_sdwa v0, v9, v0 dst_sel:DWORD dst_unused:UNUSED_PAD src0_sel:BYTE_0 src1_sel:DWORD
	v_lshrrev_b16_e32 v0, 11, v0
	v_mul_lo_u16_e32 v0, 50, v0
	v_sub_u16_e32 v0, v9, v0
	v_lshlrev_b32_sdwa v38, v38, v0 dst_sel:DWORD dst_unused:UNUSED_PAD src0_sel:DWORD src1_sel:BYTE_0
	global_load_dwordx4 v[53:56], v38, s[8:9] offset:640
	global_load_dwordx4 v[57:60], v38, s[8:9] offset:656
	ds_read_b128 v[61:64], v41 offset:2400
	ds_read_b128 v[65:68], v41 offset:4800
	ds_read_b128 v[69:72], v4
	ds_read_b128 v[73:76], v41 offset:2880
	ds_read_b128 v[77:80], v46
	ds_read_b128 v[81:84], v41 offset:960
	ds_read_b128 v[85:88], v41 offset:5280
	ds_read_b128 v[89:92], v41 offset:5760
	ds_read_b128 v[93:96], v41 offset:3360
	ds_read_b128 v[97:100], v41 offset:3840
	ds_read_b128 v[101:104], v41 offset:4320
	s_mov_b32 s4, 0xe8584caa
	s_mov_b32 s5, 0xbfebb67a
	;; [unrolled: 1-line block ×4, first 2 shown]
	v_cmp_lt_u32_e64 s[2:3], 19, v40
	s_movk_i32 s10, 0x960
	v_lshlrev_b32_sdwa v0, v8, v0 dst_sel:DWORD dst_unused:UNUSED_PAD src0_sel:DWORD src1_sel:BYTE_0
	v_add3_u32 v0, 0, v0, v48
	s_waitcnt vmcnt(9) lgkmcnt(9)
	v_mul_f64 v[107:108], v[65:66], v[12:13]
	s_waitcnt vmcnt(8)
	v_mul_f64 v[38:39], v[63:64], v[16:17]
	v_mul_f64 v[16:17], v[61:62], v[16:17]
	v_fma_f64 v[38:39], v[61:62], v[14:15], v[38:39]
	v_fma_f64 v[105:106], v[63:64], v[14:15], -v[16:17]
	v_mul_f64 v[16:17], v[67:68], v[12:13]
	s_waitcnt vmcnt(7) lgkmcnt(4)
	v_mul_f64 v[111:112], v[87:88], v[20:21]
	s_waitcnt vmcnt(6)
	v_mul_f64 v[109:110], v[75:76], v[24:25]
	v_mul_f64 v[24:25], v[73:74], v[24:25]
	;; [unrolled: 1-line block ×3, first 2 shown]
	ds_read_b128 v[12:15], v41 offset:1440
	ds_read_b128 v[61:64], v41 offset:1920
	v_fma_f64 v[65:66], v[65:66], v[10:11], v[16:17]
	v_fma_f64 v[10:11], v[67:68], v[10:11], -v[107:108]
	v_fma_f64 v[67:68], v[73:74], v[22:23], v[109:110]
	v_fma_f64 v[73:74], v[75:76], v[22:23], -v[24:25]
	;; [unrolled: 2-line block ×3, first 2 shown]
	s_waitcnt vmcnt(4) lgkmcnt(4)
	v_mul_f64 v[24:25], v[95:96], v[32:33]
	v_mul_f64 v[32:33], v[93:94], v[32:33]
	;; [unrolled: 1-line block ×4, first 2 shown]
	ds_read_b128 v[16:19], v41 offset:6240
	ds_read_b128 v[20:23], v41 offset:6720
	s_waitcnt vmcnt(3) lgkmcnt(5)
	v_mul_f64 v[107:108], v[99:100], v[36:37]
	v_mul_f64 v[36:37], v[97:98], v[36:37]
	s_waitcnt lgkmcnt(0)
	v_fma_f64 v[93:94], v[93:94], v[30:31], v[24:25]
	v_fma_f64 v[95:96], v[95:96], v[30:31], -v[32:33]
	s_waitcnt vmcnt(2)
	v_mul_f64 v[24:25], v[18:19], v[51:52]
	v_fma_f64 v[87:88], v[89:90], v[26:27], v[87:88]
	v_fma_f64 v[89:90], v[91:92], v[26:27], -v[28:29]
	v_mul_f64 v[26:27], v[16:17], v[51:52]
	s_waitcnt vmcnt(0)
	v_mul_f64 v[32:33], v[20:21], v[59:60]
	v_fma_f64 v[91:92], v[97:98], v[34:35], v[107:108]
	v_fma_f64 v[97:98], v[99:100], v[34:35], -v[36:37]
	v_mul_f64 v[28:29], v[103:104], v[55:56]
	v_add_f64 v[30:31], v[38:39], v[65:66]
	v_fma_f64 v[99:100], v[16:17], v[49:50], v[24:25]
	v_mul_f64 v[16:17], v[101:102], v[55:56]
	v_mul_f64 v[24:25], v[22:23], v[59:60]
	v_fma_f64 v[59:60], v[18:19], v[49:50], -v[26:27]
	v_add_f64 v[18:19], v[77:78], v[38:39]
	v_fma_f64 v[107:108], v[22:23], v[57:58], -v[32:33]
	v_add_f64 v[22:23], v[105:106], v[10:11]
	v_fma_f64 v[101:102], v[101:102], v[53:54], v[28:29]
	v_fma_f64 v[26:27], v[30:31], -0.5, v[77:78]
	v_add_f64 v[28:29], v[105:106], -v[10:11]
	v_fma_f64 v[77:78], v[103:104], v[53:54], -v[16:17]
	v_add_f64 v[34:35], v[38:39], -v[65:66]
	v_add_f64 v[16:17], v[18:19], v[65:66]
	v_add_f64 v[18:19], v[79:80], v[105:106]
	v_fma_f64 v[32:33], v[22:23], -0.5, v[79:80]
	v_fma_f64 v[103:104], v[20:21], v[57:58], v[24:25]
	v_add_f64 v[30:31], v[67:68], v[75:76]
	v_fma_f64 v[20:21], v[28:29], s[4:5], v[26:27]
	v_fma_f64 v[24:25], v[28:29], s[6:7], v[26:27]
	v_add_f64 v[51:52], v[95:96], v[89:90]
	v_add_f64 v[28:29], v[69:70], v[67:68]
	v_add_f64 v[18:19], v[18:19], v[10:11]
	v_add_f64 v[10:11], v[73:74], v[85:86]
	v_fma_f64 v[22:23], v[34:35], s[6:7], v[32:33]
	v_fma_f64 v[26:27], v[34:35], s[4:5], v[32:33]
	v_add_f64 v[34:35], v[93:94], v[87:88]
	v_add_f64 v[65:66], v[91:92], v[99:100]
	v_fma_f64 v[30:31], v[30:31], -0.5, v[69:70]
	v_add_f64 v[36:37], v[73:74], -v[85:86]
	v_add_f64 v[38:39], v[71:72], v[73:74]
	v_fma_f64 v[10:11], v[10:11], -0.5, v[71:72]
	v_add_f64 v[49:50], v[67:68], -v[75:76]
	;; [unrolled: 3-line block ×4, first 2 shown]
	v_add_f64 v[73:74], v[12:13], v[91:92]
	v_add_f64 v[28:29], v[28:29], v[75:76]
	v_fma_f64 v[75:76], v[65:66], -0.5, v[12:13]
	v_add_f64 v[79:80], v[97:98], -v[59:60]
	v_fma_f64 v[32:33], v[36:37], s[4:5], v[30:31]
	v_fma_f64 v[36:37], v[36:37], s[6:7], v[30:31]
	v_add_f64 v[30:31], v[38:39], v[85:86]
	v_fma_f64 v[34:35], v[49:50], s[6:7], v[10:11]
	v_fma_f64 v[38:39], v[49:50], s[4:5], v[10:11]
	v_add_f64 v[10:11], v[53:54], v[87:88]
	;; [unrolled: 3-line block ×3, first 2 shown]
	v_fma_f64 v[51:52], v[71:72], s[6:7], v[69:70]
	v_add_f64 v[67:68], v[97:98], v[59:60]
	v_fma_f64 v[55:56], v[71:72], s[4:5], v[69:70]
	v_add_f64 v[57:58], v[73:74], v[99:100]
	v_add_f64 v[71:72], v[101:102], v[103:104]
	;; [unrolled: 1-line block ×3, first 2 shown]
	v_fma_f64 v[65:66], v[79:80], s[4:5], v[75:76]
	v_fma_f64 v[69:70], v[79:80], s[6:7], v[75:76]
	v_add_f64 v[75:76], v[14:15], v[97:98]
	v_add_f64 v[81:82], v[61:62], v[101:102]
	;; [unrolled: 1-line block ×3, first 2 shown]
	v_fma_f64 v[14:15], v[67:68], -0.5, v[14:15]
	v_add_f64 v[79:80], v[91:92], -v[99:100]
	v_fma_f64 v[83:84], v[71:72], -0.5, v[61:62]
	v_add_f64 v[85:86], v[77:78], -v[107:108]
	;; [unrolled: 2-line block ×3, first 2 shown]
	v_add_f64 v[59:60], v[75:76], v[59:60]
	v_add_f64 v[61:62], v[81:82], v[103:104]
	;; [unrolled: 1-line block ×3, first 2 shown]
	v_fma_f64 v[67:68], v[79:80], s[6:7], v[14:15]
	v_fma_f64 v[71:72], v[79:80], s[4:5], v[14:15]
	;; [unrolled: 1-line block ×6, first 2 shown]
	v_mov_b32_e32 v14, 0x960
	v_cndmask_b32_e64 v14, 0, v14, s[2:3]
	v_add_u32_e32 v14, 0, v14
	v_lshlrev_b32_e32 v15, 4, v113
	v_add3_u32 v14, v14, v15, v48
	s_barrier
	ds_write_b128 v41, v[16:19]
	ds_write_b128 v41, v[20:23] offset:800
	ds_write_b128 v41, v[24:27] offset:1600
	ds_write_b128 v14, v[28:31]
	ds_write_b128 v14, v[32:35] offset:800
	ds_write_b128 v14, v[36:39] offset:1600
	;; [unrolled: 1-line block ×5, first 2 shown]
	v_mad_u32_u24 v10, v114, s10, 0
	v_lshlrev_b32_sdwa v11, v8, v115 dst_sel:DWORD dst_unused:UNUSED_PAD src0_sel:DWORD src1_sel:BYTE_0
	v_add3_u32 v10, v10, v11, v48
	ds_write_b128 v10, v[57:60]
	ds_write_b128 v10, v[65:68] offset:800
	ds_write_b128 v10, v[69:72] offset:1600
	;; [unrolled: 1-line block ×5, first 2 shown]
	v_lshlrev_b32_e32 v0, 1, v44
	s_waitcnt lgkmcnt(0)
	s_barrier
	global_load_dwordx4 v[10:13], v[2:3], off offset:2256
	global_load_dwordx4 v[14:17], v[2:3], off offset:2240
	v_lshlrev_b64 v[2:3], 4, v[0:1]
	v_lshlrev_b32_e32 v0, 1, v5
	v_add_co_u32_e64 v2, s[2:3], s8, v2
	v_addc_co_u32_e64 v3, s[2:3], v6, v3, s[2:3]
	global_load_dwordx4 v[18:21], v[2:3], off offset:2240
	global_load_dwordx4 v[22:25], v[2:3], off offset:2256
	v_lshlrev_b64 v[2:3], 4, v[0:1]
	v_lshlrev_b32_e32 v0, 1, v7
	v_add_co_u32_e64 v2, s[2:3], s8, v2
	v_addc_co_u32_e64 v3, s[2:3], v6, v3, s[2:3]
	;; [unrolled: 6-line block ×3, first 2 shown]
	global_load_dwordx4 v[34:37], v[2:3], off offset:2240
	global_load_dwordx4 v[48:51], v[2:3], off offset:2256
	v_lshlrev_b64 v[2:3], 4, v[0:1]
	v_add_co_u32_e64 v2, s[2:3], s8, v2
	v_addc_co_u32_e64 v3, s[2:3], v6, v3, s[2:3]
	global_load_dwordx4 v[5:8], v[2:3], off offset:2240
	global_load_dwordx4 v[52:55], v[2:3], off offset:2256
	ds_read_b128 v[56:59], v41 offset:4800
	ds_read_b128 v[60:63], v4
	ds_read_b128 v[64:67], v41 offset:2400
	ds_read_b128 v[68:71], v41 offset:2880
	ds_read_b128 v[72:75], v46
	ds_read_b128 v[76:79], v41 offset:960
	ds_read_b128 v[80:83], v41 offset:5280
	;; [unrolled: 1-line block ×10, first 2 shown]
	s_waitcnt vmcnt(0) lgkmcnt(0)
	s_barrier
	v_cmp_ne_u32_e64 s[2:3], 0, v40
	v_mul_f64 v[38:39], v[58:59], v[12:13]
	v_mul_f64 v[2:3], v[66:67], v[16:17]
	;; [unrolled: 1-line block ×6, first 2 shown]
	v_fma_f64 v[2:3], v[64:65], v[14:15], v[2:3]
	v_fma_f64 v[14:15], v[66:67], v[14:15], -v[16:17]
	v_mul_f64 v[16:17], v[82:83], v[24:25]
	v_fma_f64 v[38:39], v[56:57], v[10:11], v[38:39]
	v_fma_f64 v[11:12], v[58:59], v[10:11], -v[12:13]
	v_mul_f64 v[24:25], v[80:81], v[24:25]
	v_fma_f64 v[56:57], v[68:69], v[18:19], v[116:117]
	v_mul_f64 v[9:10], v[90:91], v[32:33]
	v_fma_f64 v[18:19], v[70:71], v[18:19], -v[20:21]
	v_mul_f64 v[20:21], v[88:89], v[32:33]
	v_fma_f64 v[32:33], v[80:81], v[22:23], v[16:17]
	v_mul_f64 v[16:17], v[86:87], v[28:29]
	v_mul_f64 v[28:29], v[84:85], v[28:29]
	v_fma_f64 v[23:24], v[82:83], v[22:23], -v[24:25]
	v_mul_f64 v[58:59], v[94:95], v[36:37]
	v_fma_f64 v[64:65], v[88:89], v[30:31], v[9:10]
	v_mul_f64 v[9:10], v[92:93], v[36:37]
	v_fma_f64 v[30:31], v[90:91], v[30:31], -v[20:21]
	v_mul_f64 v[20:21], v[110:111], v[50:51]
	v_fma_f64 v[36:37], v[84:85], v[26:27], v[16:17]
	v_mul_f64 v[16:17], v[108:109], v[50:51]
	v_fma_f64 v[50:51], v[86:87], v[26:27], -v[28:29]
	v_mul_f64 v[25:26], v[106:107], v[7:8]
	v_mul_f64 v[7:8], v[104:105], v[7:8]
	v_fma_f64 v[66:67], v[94:95], v[34:35], -v[9:10]
	v_add_f64 v[9:10], v[2:3], v[38:39]
	v_fma_f64 v[68:69], v[108:109], v[48:49], v[20:21]
	v_mul_f64 v[20:21], v[112:113], v[54:55]
	v_fma_f64 v[58:59], v[92:93], v[34:35], v[58:59]
	v_fma_f64 v[70:71], v[110:111], v[48:49], -v[16:17]
	v_mul_f64 v[16:17], v[114:115], v[54:55]
	v_fma_f64 v[54:55], v[104:105], v[5:6], v[25:26]
	v_add_f64 v[25:26], v[72:73], v[2:3]
	v_fma_f64 v[80:81], v[106:107], v[5:6], -v[7:8]
	v_add_f64 v[7:8], v[14:15], v[11:12]
	v_fma_f64 v[27:28], v[9:10], -0.5, v[72:73]
	v_add_f64 v[34:35], v[14:15], -v[11:12]
	v_fma_f64 v[82:83], v[114:115], v[52:53], -v[20:21]
	v_add_f64 v[20:21], v[56:57], v[32:33]
	v_fma_f64 v[72:73], v[112:113], v[52:53], v[16:17]
	v_add_f64 v[15:16], v[74:75], v[14:15]
	v_add_f64 v[5:6], v[25:26], v[38:39]
	v_fma_f64 v[25:26], v[7:8], -0.5, v[74:75]
	v_add_f64 v[2:3], v[2:3], -v[38:39]
	v_fma_f64 v[9:10], v[34:35], s[4:5], v[27:28]
	v_fma_f64 v[13:14], v[34:35], s[6:7], v[27:28]
	v_add_f64 v[27:28], v[60:61], v[56:57]
	v_add_f64 v[34:35], v[18:19], v[23:24]
	v_fma_f64 v[38:39], v[20:21], -0.5, v[60:61]
	v_add_f64 v[48:49], v[18:19], -v[23:24]
	v_add_f64 v[7:8], v[15:16], v[11:12]
	v_fma_f64 v[11:12], v[2:3], s[6:7], v[25:26]
	v_add_f64 v[19:20], v[62:63], v[18:19]
	v_fma_f64 v[15:16], v[2:3], s[4:5], v[25:26]
	v_add_f64 v[17:18], v[27:28], v[32:33]
	v_add_f64 v[2:3], v[64:65], v[36:37]
	v_fma_f64 v[27:28], v[34:35], -0.5, v[62:63]
	v_add_f64 v[32:33], v[56:57], -v[32:33]
	v_fma_f64 v[21:22], v[48:49], s[4:5], v[38:39]
	v_fma_f64 v[25:26], v[48:49], s[6:7], v[38:39]
	v_add_f64 v[34:35], v[30:31], v[50:51]
	v_add_f64 v[38:39], v[76:77], v[64:65]
	;; [unrolled: 1-line block ×4, first 2 shown]
	v_fma_f64 v[2:3], v[2:3], -0.5, v[76:77]
	v_add_f64 v[48:49], v[30:31], -v[50:51]
	v_fma_f64 v[23:24], v[32:33], s[6:7], v[27:28]
	v_fma_f64 v[27:28], v[32:33], s[4:5], v[27:28]
	v_add_f64 v[31:32], v[78:79], v[30:31]
	v_fma_f64 v[56:57], v[34:35], -0.5, v[78:79]
	v_add_f64 v[60:61], v[64:65], -v[36:37]
	v_add_f64 v[29:30], v[38:39], v[36:37]
	v_add_f64 v[37:38], v[96:97], v[58:59]
	v_fma_f64 v[62:63], v[52:53], -0.5, v[96:97]
	v_add_f64 v[64:65], v[66:67], -v[70:71]
	v_fma_f64 v[33:34], v[48:49], s[4:5], v[2:3]
	v_fma_f64 v[48:49], v[48:49], s[6:7], v[2:3]
	v_add_f64 v[31:32], v[31:32], v[50:51]
	v_fma_f64 v[35:36], v[60:61], s[6:7], v[56:57]
	v_add_f64 v[2:3], v[66:67], v[70:71]
	;; [unrolled: 2-line block ×3, first 2 shown]
	v_add_f64 v[37:38], v[54:55], v[72:73]
	v_fma_f64 v[56:57], v[64:65], s[4:5], v[62:63]
	v_fma_f64 v[60:61], v[64:65], s[6:7], v[62:63]
	v_add_f64 v[62:63], v[80:81], v[82:83]
	v_add_f64 v[64:65], v[98:99], v[66:67]
	v_fma_f64 v[2:3], v[2:3], -0.5, v[98:99]
	v_add_f64 v[66:67], v[58:59], -v[68:69]
	v_add_f64 v[68:69], v[100:101], v[54:55]
	v_fma_f64 v[37:38], v[37:38], -0.5, v[100:101]
	v_add_f64 v[74:75], v[80:81], -v[82:83]
	;; [unrolled: 3-line block ×3, first 2 shown]
	v_add_f64 v[54:55], v[64:65], v[70:71]
	v_fma_f64 v[58:59], v[66:67], s[6:7], v[2:3]
	v_fma_f64 v[62:63], v[66:67], s[4:5], v[2:3]
	v_add_f64 v[64:65], v[68:69], v[72:73]
	v_fma_f64 v[68:69], v[74:75], s[4:5], v[37:38]
	v_fma_f64 v[72:73], v[74:75], s[6:7], v[37:38]
	;; [unrolled: 3-line block ×3, first 2 shown]
	ds_write_b128 v41, v[5:8]
	ds_write_b128 v41, v[9:12] offset:2400
	ds_write_b128 v41, v[13:16] offset:4800
	ds_write_b128 v4, v[17:20]
	ds_write_b128 v4, v[21:24] offset:2400
	ds_write_b128 v4, v[25:28] offset:4800
	;; [unrolled: 1-line block ×11, first 2 shown]
	s_waitcnt lgkmcnt(0)
	s_barrier
	ds_read_b128 v[4:7], v46
	s_add_u32 s6, s8, 0x1b80
	s_addc_u32 s7, s9, 0
	v_sub_u32_e32 v12, v47, v45
                                        ; implicit-def: $vgpr2_vgpr3
                                        ; implicit-def: $vgpr8_vgpr9
                                        ; implicit-def: $vgpr10_vgpr11
	s_and_saveexec_b64 s[4:5], s[2:3]
	s_xor_b64 s[4:5], exec, s[4:5]
	s_cbranch_execz .LBB0_17
; %bb.16:
	v_mov_b32_e32 v41, v1
	v_lshlrev_b64 v[0:1], 4, v[40:41]
	v_mov_b32_e32 v2, s7
	v_add_co_u32_e64 v0, s[2:3], s6, v0
	v_addc_co_u32_e64 v1, s[2:3], v2, v1, s[2:3]
	global_load_dwordx4 v[0:3], v[0:1], off
	ds_read_b128 v[8:11], v12 offset:7200
	s_waitcnt lgkmcnt(0)
	v_add_f64 v[13:14], v[4:5], -v[8:9]
	v_add_f64 v[15:16], v[6:7], v[10:11]
	v_add_f64 v[6:7], v[6:7], -v[10:11]
	v_add_f64 v[4:5], v[4:5], v[8:9]
	v_mul_f64 v[10:11], v[13:14], 0.5
	v_mul_f64 v[13:14], v[15:16], 0.5
	;; [unrolled: 1-line block ×3, first 2 shown]
	s_waitcnt vmcnt(0)
	v_mul_f64 v[8:9], v[10:11], v[2:3]
	v_fma_f64 v[15:16], v[13:14], v[2:3], v[6:7]
	v_fma_f64 v[2:3], v[13:14], v[2:3], -v[6:7]
	v_fma_f64 v[17:18], v[4:5], 0.5, v[8:9]
	v_fma_f64 v[4:5], v[4:5], 0.5, -v[8:9]
	v_fma_f64 v[8:9], -v[0:1], v[10:11], v[15:16]
	v_fma_f64 v[2:3], -v[0:1], v[10:11], v[2:3]
	v_mov_b32_e32 v10, v40
	v_mov_b32_e32 v11, v41
	v_fma_f64 v[6:7], v[13:14], v[0:1], v[17:18]
	v_fma_f64 v[0:1], -v[13:14], v[0:1], v[4:5]
                                        ; implicit-def: $vgpr4_vgpr5
	ds_write_b64 v46, v[6:7]
.LBB0_17:
	s_andn2_saveexec_b64 s[2:3], s[4:5]
	s_cbranch_execz .LBB0_19
; %bb.18:
	s_waitcnt lgkmcnt(0)
	v_add_f64 v[2:3], v[4:5], v[6:7]
	ds_read_b64 v[13:14], v47 offset:3608
	v_add_f64 v[0:1], v[4:5], -v[6:7]
	v_mov_b32_e32 v8, 0
	v_mov_b32_e32 v10, 0
	;; [unrolled: 1-line block ×3, first 2 shown]
	s_waitcnt lgkmcnt(0)
	v_xor_b32_e32 v14, 0x80000000, v14
	ds_write_b64 v47, v[13:14] offset:3608
	ds_write_b64 v46, v[2:3]
	v_mov_b32_e32 v2, v8
	v_mov_b32_e32 v11, 0
	;; [unrolled: 1-line block ×3, first 2 shown]
.LBB0_19:
	s_or_b64 exec, exec, s[2:3]
	v_mov_b32_e32 v45, 0
	s_waitcnt lgkmcnt(0)
	v_lshlrev_b64 v[4:5], 4, v[44:45]
	v_mov_b32_e32 v6, s7
	v_add_co_u32_e64 v4, s[2:3], s6, v4
	v_addc_co_u32_e64 v5, s[2:3], v6, v5, s[2:3]
	global_load_dwordx4 v[13:16], v[4:5], off
	v_lshlrev_b64 v[4:5], 4, v[10:11]
	v_mov_b32_e32 v7, s7
	v_add_co_u32_e64 v6, s[2:3], s6, v4
	v_addc_co_u32_e64 v7, s[2:3], v7, v5, s[2:3]
	global_load_dwordx4 v[17:20], v[6:7], off offset:960
	ds_write_b64 v46, v[8:9] offset:8
	ds_write_b128 v12, v[0:3] offset:7200
	v_lshl_add_u32 v29, v44, 4, v47
	ds_read_b128 v[0:3], v29
	ds_read_b128 v[8:11], v12 offset:6720
	s_waitcnt lgkmcnt(0)
	v_add_f64 v[21:22], v[0:1], -v[8:9]
	v_add_f64 v[23:24], v[2:3], v[10:11]
	v_add_f64 v[2:3], v[2:3], -v[10:11]
	v_add_f64 v[0:1], v[0:1], v[8:9]
	v_mul_f64 v[21:22], v[21:22], 0.5
	v_mul_f64 v[23:24], v[23:24], 0.5
	;; [unrolled: 1-line block ×3, first 2 shown]
	s_waitcnt vmcnt(1)
	v_mul_f64 v[8:9], v[21:22], v[15:16]
	v_fma_f64 v[10:11], v[23:24], v[15:16], v[2:3]
	v_fma_f64 v[15:16], v[23:24], v[15:16], -v[2:3]
	v_fma_f64 v[25:26], v[0:1], 0.5, v[8:9]
	v_fma_f64 v[27:28], v[0:1], 0.5, -v[8:9]
	global_load_dwordx4 v[0:3], v[6:7], off offset:1440
	v_fma_f64 v[10:11], -v[13:14], v[21:22], v[10:11]
	v_fma_f64 v[15:16], -v[13:14], v[21:22], v[15:16]
	v_fma_f64 v[8:9], v[23:24], v[13:14], v[25:26]
	v_fma_f64 v[13:14], -v[23:24], v[13:14], v[27:28]
	ds_write_b128 v29, v[8:11]
	ds_write_b128 v12, v[13:16] offset:6720
	ds_read_b128 v[8:11], v46 offset:960
	ds_read_b128 v[13:16], v12 offset:6240
	s_waitcnt lgkmcnt(0)
	v_add_f64 v[21:22], v[8:9], -v[13:14]
	v_add_f64 v[23:24], v[10:11], v[15:16]
	v_add_f64 v[10:11], v[10:11], -v[15:16]
	v_add_f64 v[8:9], v[8:9], v[13:14]
	v_mul_f64 v[21:22], v[21:22], 0.5
	v_mul_f64 v[23:24], v[23:24], 0.5
	v_mul_f64 v[10:11], v[10:11], 0.5
	s_waitcnt vmcnt(1)
	v_mul_f64 v[13:14], v[21:22], v[19:20]
	v_fma_f64 v[15:16], v[23:24], v[19:20], v[10:11]
	v_fma_f64 v[19:20], v[23:24], v[19:20], -v[10:11]
	v_fma_f64 v[25:26], v[8:9], 0.5, v[13:14]
	v_fma_f64 v[27:28], v[8:9], 0.5, -v[13:14]
	global_load_dwordx4 v[8:11], v[6:7], off offset:1920
	v_fma_f64 v[15:16], -v[17:18], v[21:22], v[15:16]
	v_fma_f64 v[19:20], -v[17:18], v[21:22], v[19:20]
	v_fma_f64 v[13:14], v[23:24], v[17:18], v[25:26]
	v_fma_f64 v[17:18], -v[23:24], v[17:18], v[27:28]
	ds_write_b128 v46, v[13:16] offset:960
	ds_write_b128 v12, v[17:20] offset:6240
	ds_read_b128 v[13:16], v46 offset:1440
	ds_read_b128 v[17:20], v12 offset:5760
	s_waitcnt lgkmcnt(0)
	v_add_f64 v[21:22], v[13:14], -v[17:18]
	v_add_f64 v[23:24], v[15:16], v[19:20]
	v_add_f64 v[15:16], v[15:16], -v[19:20]
	v_add_f64 v[13:14], v[13:14], v[17:18]
	v_mul_f64 v[21:22], v[21:22], 0.5
	v_mul_f64 v[23:24], v[23:24], 0.5
	v_mul_f64 v[15:16], v[15:16], 0.5
	s_waitcnt vmcnt(1)
	v_mul_f64 v[17:18], v[21:22], v[2:3]
	v_fma_f64 v[19:20], v[23:24], v[2:3], v[15:16]
	v_fma_f64 v[2:3], v[23:24], v[2:3], -v[15:16]
	v_fma_f64 v[25:26], v[13:14], 0.5, v[17:18]
	v_fma_f64 v[27:28], v[13:14], 0.5, -v[17:18]
	global_load_dwordx4 v[13:16], v[6:7], off offset:2400
	v_fma_f64 v[19:20], -v[0:1], v[21:22], v[19:20]
	v_fma_f64 v[2:3], -v[0:1], v[21:22], v[2:3]
	v_fma_f64 v[17:18], v[23:24], v[0:1], v[25:26]
	v_fma_f64 v[0:1], -v[23:24], v[0:1], v[27:28]
	ds_write_b128 v46, v[17:20] offset:1440
	;; [unrolled: 23-line block ×3, first 2 shown]
	ds_write_b128 v12, v[8:11] offset:5280
	ds_read_b128 v[8:11], v46 offset:2400
	ds_read_b128 v[17:20], v12 offset:4800
	s_waitcnt lgkmcnt(0)
	v_add_f64 v[21:22], v[8:9], -v[17:18]
	v_add_f64 v[23:24], v[10:11], v[19:20]
	v_add_f64 v[10:11], v[10:11], -v[19:20]
	v_add_f64 v[8:9], v[8:9], v[17:18]
	v_mul_f64 v[19:20], v[21:22], 0.5
	v_mul_f64 v[21:22], v[23:24], 0.5
	;; [unrolled: 1-line block ×3, first 2 shown]
	s_waitcnt vmcnt(1)
	v_mul_f64 v[17:18], v[19:20], v[15:16]
	v_fma_f64 v[23:24], v[21:22], v[15:16], v[10:11]
	v_fma_f64 v[15:16], v[21:22], v[15:16], -v[10:11]
	v_fma_f64 v[25:26], v[8:9], 0.5, v[17:18]
	v_fma_f64 v[17:18], v[8:9], 0.5, -v[17:18]
	v_fma_f64 v[10:11], -v[13:14], v[19:20], v[23:24]
	v_fma_f64 v[15:16], -v[13:14], v[19:20], v[15:16]
	v_fma_f64 v[8:9], v[21:22], v[13:14], v[25:26]
	v_fma_f64 v[13:14], -v[21:22], v[13:14], v[17:18]
	ds_write_b128 v46, v[8:11] offset:2400
	ds_write_b128 v12, v[13:16] offset:4800
	ds_read_b128 v[8:11], v46 offset:2880
	ds_read_b128 v[13:16], v12 offset:4320
	s_waitcnt lgkmcnt(0)
	v_add_f64 v[17:18], v[8:9], -v[13:14]
	v_add_f64 v[19:20], v[10:11], v[15:16]
	v_add_f64 v[10:11], v[10:11], -v[15:16]
	v_add_f64 v[8:9], v[8:9], v[13:14]
	v_mul_f64 v[15:16], v[17:18], 0.5
	v_mul_f64 v[17:18], v[19:20], 0.5
	;; [unrolled: 1-line block ×3, first 2 shown]
	s_waitcnt vmcnt(0)
	v_mul_f64 v[13:14], v[15:16], v[2:3]
	v_fma_f64 v[19:20], v[17:18], v[2:3], v[10:11]
	v_fma_f64 v[2:3], v[17:18], v[2:3], -v[10:11]
	v_fma_f64 v[21:22], v[8:9], 0.5, v[13:14]
	v_fma_f64 v[13:14], v[8:9], 0.5, -v[13:14]
	v_fma_f64 v[10:11], -v[0:1], v[15:16], v[19:20]
	v_fma_f64 v[2:3], -v[0:1], v[15:16], v[2:3]
	v_fma_f64 v[8:9], v[17:18], v[0:1], v[21:22]
	v_fma_f64 v[0:1], -v[17:18], v[0:1], v[13:14]
	ds_write_b128 v46, v[8:11] offset:2880
	ds_write_b128 v12, v[0:3] offset:4320
	s_and_saveexec_b64 s[2:3], vcc
	s_cbranch_execz .LBB0_21
; %bb.20:
	global_load_dwordx4 v[0:3], v[6:7], off offset:3360
	ds_read_b128 v[6:9], v46 offset:3360
	ds_read_b128 v[13:16], v12 offset:3840
	s_waitcnt lgkmcnt(0)
	v_add_f64 v[10:11], v[6:7], -v[13:14]
	v_add_f64 v[17:18], v[8:9], v[15:16]
	v_add_f64 v[8:9], v[8:9], -v[15:16]
	v_add_f64 v[6:7], v[6:7], v[13:14]
	v_mul_f64 v[10:11], v[10:11], 0.5
	v_mul_f64 v[15:16], v[17:18], 0.5
	;; [unrolled: 1-line block ×3, first 2 shown]
	s_waitcnt vmcnt(0)
	v_mul_f64 v[13:14], v[10:11], v[2:3]
	v_fma_f64 v[17:18], v[15:16], v[2:3], v[8:9]
	v_fma_f64 v[2:3], v[15:16], v[2:3], -v[8:9]
	v_fma_f64 v[19:20], v[6:7], 0.5, v[13:14]
	v_fma_f64 v[13:14], v[6:7], 0.5, -v[13:14]
	v_fma_f64 v[8:9], -v[0:1], v[10:11], v[17:18]
	v_fma_f64 v[2:3], -v[0:1], v[10:11], v[2:3]
	v_fma_f64 v[6:7], v[15:16], v[0:1], v[19:20]
	v_fma_f64 v[0:1], -v[15:16], v[0:1], v[13:14]
	ds_write_b128 v46, v[6:9] offset:3360
	ds_write_b128 v12, v[0:3] offset:3840
.LBB0_21:
	s_or_b64 exec, exec, s[2:3]
	s_waitcnt lgkmcnt(0)
	s_barrier
	s_and_saveexec_b64 s[2:3], s[0:1]
	s_cbranch_execz .LBB0_24
; %bb.22:
	v_mov_b32_e32 v0, s13
	v_add_co_u32_e32 v1, vcc, s12, v42
	v_addc_co_u32_e32 v0, vcc, v0, v43, vcc
	v_add_co_u32_e32 v18, vcc, v1, v4
	ds_read_b128 v[6:9], v46
	ds_read_b128 v[10:13], v46 offset:480
	ds_read_b128 v[14:17], v46 offset:960
	v_addc_co_u32_e32 v19, vcc, v0, v5, vcc
	ds_read_b128 v[2:5], v46 offset:1440
	s_waitcnt lgkmcnt(3)
	global_store_dwordx4 v[18:19], v[6:9], off
	s_waitcnt lgkmcnt(2)
	global_store_dwordx4 v[18:19], v[10:13], off offset:480
	s_waitcnt lgkmcnt(1)
	global_store_dwordx4 v[18:19], v[14:17], off offset:960
	ds_read_b128 v[6:9], v46 offset:1920
	s_movk_i32 s0, 0x1000
	s_waitcnt lgkmcnt(1)
	global_store_dwordx4 v[18:19], v[2:5], off offset:1440
	ds_read_b128 v[2:5], v46 offset:2400
	ds_read_b128 v[10:13], v46 offset:2880
	;; [unrolled: 1-line block ×3, first 2 shown]
	v_add_co_u32_e32 v22, vcc, s0, v18
	s_waitcnt lgkmcnt(3)
	global_store_dwordx4 v[18:19], v[6:9], off offset:1920
	ds_read_b128 v[6:9], v46 offset:3840
	s_waitcnt lgkmcnt(3)
	global_store_dwordx4 v[18:19], v[2:5], off offset:2400
	s_waitcnt lgkmcnt(2)
	global_store_dwordx4 v[18:19], v[10:13], off offset:2880
	;; [unrolled: 2-line block ×3, first 2 shown]
	ds_read_b128 v[2:5], v46 offset:4320
	v_addc_co_u32_e32 v23, vcc, 0, v19, vcc
	s_waitcnt lgkmcnt(1)
	global_store_dwordx4 v[18:19], v[6:9], off offset:3840
	v_cmp_eq_u32_e32 vcc, 29, v40
	s_waitcnt lgkmcnt(0)
	global_store_dwordx4 v[22:23], v[2:5], off offset:224
	ds_read_b128 v[2:5], v46 offset:4800
	ds_read_b128 v[6:9], v46 offset:5280
	;; [unrolled: 1-line block ×5, first 2 shown]
	s_waitcnt lgkmcnt(4)
	global_store_dwordx4 v[22:23], v[2:5], off offset:704
	s_waitcnt lgkmcnt(3)
	global_store_dwordx4 v[22:23], v[6:9], off offset:1184
	s_waitcnt lgkmcnt(2)
	global_store_dwordx4 v[22:23], v[10:13], off offset:1664
	s_waitcnt lgkmcnt(1)
	global_store_dwordx4 v[22:23], v[14:17], off offset:2144
	s_waitcnt lgkmcnt(0)
	global_store_dwordx4 v[22:23], v[18:21], off offset:2624
	s_and_b64 exec, exec, vcc
	s_cbranch_execz .LBB0_24
; %bb.23:
	ds_read_b128 v[2:5], v46 offset:6736
	v_add_co_u32_e32 v6, vcc, 0x1000, v1
	v_addc_co_u32_e32 v7, vcc, 0, v0, vcc
	s_waitcnt lgkmcnt(0)
	global_store_dwordx4 v[6:7], v[2:5], off offset:3104
.LBB0_24:
	s_endpgm
	.section	.rodata,"a",@progbits
	.p2align	6, 0x0
	.amdhsa_kernel fft_rtc_back_len450_factors_10_5_3_3_wgs_120_tpt_30_halfLds_dp_ip_CI_unitstride_sbrr_R2C_dirReg
		.amdhsa_group_segment_fixed_size 0
		.amdhsa_private_segment_fixed_size 0
		.amdhsa_kernarg_size 88
		.amdhsa_user_sgpr_count 6
		.amdhsa_user_sgpr_private_segment_buffer 1
		.amdhsa_user_sgpr_dispatch_ptr 0
		.amdhsa_user_sgpr_queue_ptr 0
		.amdhsa_user_sgpr_kernarg_segment_ptr 1
		.amdhsa_user_sgpr_dispatch_id 0
		.amdhsa_user_sgpr_flat_scratch_init 0
		.amdhsa_user_sgpr_private_segment_size 0
		.amdhsa_uses_dynamic_stack 0
		.amdhsa_system_sgpr_private_segment_wavefront_offset 0
		.amdhsa_system_sgpr_workgroup_id_x 1
		.amdhsa_system_sgpr_workgroup_id_y 0
		.amdhsa_system_sgpr_workgroup_id_z 0
		.amdhsa_system_sgpr_workgroup_info 0
		.amdhsa_system_vgpr_workitem_id 0
		.amdhsa_next_free_vgpr 119
		.amdhsa_next_free_sgpr 24
		.amdhsa_reserve_vcc 1
		.amdhsa_reserve_flat_scratch 0
		.amdhsa_float_round_mode_32 0
		.amdhsa_float_round_mode_16_64 0
		.amdhsa_float_denorm_mode_32 3
		.amdhsa_float_denorm_mode_16_64 3
		.amdhsa_dx10_clamp 1
		.amdhsa_ieee_mode 1
		.amdhsa_fp16_overflow 0
		.amdhsa_exception_fp_ieee_invalid_op 0
		.amdhsa_exception_fp_denorm_src 0
		.amdhsa_exception_fp_ieee_div_zero 0
		.amdhsa_exception_fp_ieee_overflow 0
		.amdhsa_exception_fp_ieee_underflow 0
		.amdhsa_exception_fp_ieee_inexact 0
		.amdhsa_exception_int_div_zero 0
	.end_amdhsa_kernel
	.text
.Lfunc_end0:
	.size	fft_rtc_back_len450_factors_10_5_3_3_wgs_120_tpt_30_halfLds_dp_ip_CI_unitstride_sbrr_R2C_dirReg, .Lfunc_end0-fft_rtc_back_len450_factors_10_5_3_3_wgs_120_tpt_30_halfLds_dp_ip_CI_unitstride_sbrr_R2C_dirReg
                                        ; -- End function
	.section	.AMDGPU.csdata,"",@progbits
; Kernel info:
; codeLenInByte = 11696
; NumSgprs: 28
; NumVgprs: 119
; ScratchSize: 0
; MemoryBound: 0
; FloatMode: 240
; IeeeMode: 1
; LDSByteSize: 0 bytes/workgroup (compile time only)
; SGPRBlocks: 3
; VGPRBlocks: 29
; NumSGPRsForWavesPerEU: 28
; NumVGPRsForWavesPerEU: 119
; Occupancy: 2
; WaveLimiterHint : 1
; COMPUTE_PGM_RSRC2:SCRATCH_EN: 0
; COMPUTE_PGM_RSRC2:USER_SGPR: 6
; COMPUTE_PGM_RSRC2:TRAP_HANDLER: 0
; COMPUTE_PGM_RSRC2:TGID_X_EN: 1
; COMPUTE_PGM_RSRC2:TGID_Y_EN: 0
; COMPUTE_PGM_RSRC2:TGID_Z_EN: 0
; COMPUTE_PGM_RSRC2:TIDIG_COMP_CNT: 0
	.type	__hip_cuid_655cc88fcc35b93,@object ; @__hip_cuid_655cc88fcc35b93
	.section	.bss,"aw",@nobits
	.globl	__hip_cuid_655cc88fcc35b93
__hip_cuid_655cc88fcc35b93:
	.byte	0                               ; 0x0
	.size	__hip_cuid_655cc88fcc35b93, 1

	.ident	"AMD clang version 19.0.0git (https://github.com/RadeonOpenCompute/llvm-project roc-6.4.0 25133 c7fe45cf4b819c5991fe208aaa96edf142730f1d)"
	.section	".note.GNU-stack","",@progbits
	.addrsig
	.addrsig_sym __hip_cuid_655cc88fcc35b93
	.amdgpu_metadata
---
amdhsa.kernels:
  - .args:
      - .actual_access:  read_only
        .address_space:  global
        .offset:         0
        .size:           8
        .value_kind:     global_buffer
      - .offset:         8
        .size:           8
        .value_kind:     by_value
      - .actual_access:  read_only
        .address_space:  global
        .offset:         16
        .size:           8
        .value_kind:     global_buffer
      - .actual_access:  read_only
        .address_space:  global
        .offset:         24
        .size:           8
        .value_kind:     global_buffer
      - .offset:         32
        .size:           8
        .value_kind:     by_value
      - .actual_access:  read_only
        .address_space:  global
        .offset:         40
        .size:           8
        .value_kind:     global_buffer
      - .actual_access:  read_only
        .address_space:  global
        .offset:         48
        .size:           8
        .value_kind:     global_buffer
      - .offset:         56
        .size:           4
        .value_kind:     by_value
      - .actual_access:  read_only
        .address_space:  global
        .offset:         64
        .size:           8
        .value_kind:     global_buffer
      - .actual_access:  read_only
        .address_space:  global
        .offset:         72
        .size:           8
        .value_kind:     global_buffer
      - .address_space:  global
        .offset:         80
        .size:           8
        .value_kind:     global_buffer
    .group_segment_fixed_size: 0
    .kernarg_segment_align: 8
    .kernarg_segment_size: 88
    .language:       OpenCL C
    .language_version:
      - 2
      - 0
    .max_flat_workgroup_size: 120
    .name:           fft_rtc_back_len450_factors_10_5_3_3_wgs_120_tpt_30_halfLds_dp_ip_CI_unitstride_sbrr_R2C_dirReg
    .private_segment_fixed_size: 0
    .sgpr_count:     28
    .sgpr_spill_count: 0
    .symbol:         fft_rtc_back_len450_factors_10_5_3_3_wgs_120_tpt_30_halfLds_dp_ip_CI_unitstride_sbrr_R2C_dirReg.kd
    .uniform_work_group_size: 1
    .uses_dynamic_stack: false
    .vgpr_count:     119
    .vgpr_spill_count: 0
    .wavefront_size: 64
amdhsa.target:   amdgcn-amd-amdhsa--gfx906
amdhsa.version:
  - 1
  - 2
...

	.end_amdgpu_metadata
